;; amdgpu-corpus repo=ROCm/rocFFT kind=compiled arch=gfx1201 opt=O3
	.text
	.amdgcn_target "amdgcn-amd-amdhsa--gfx1201"
	.amdhsa_code_object_version 6
	.protected	fft_rtc_back_len2250_factors_10_3_5_3_5_wgs_90_tpt_90_halfLds_dp_op_CI_CI_unitstride_sbrr_C2R_dirReg ; -- Begin function fft_rtc_back_len2250_factors_10_3_5_3_5_wgs_90_tpt_90_halfLds_dp_op_CI_CI_unitstride_sbrr_C2R_dirReg
	.globl	fft_rtc_back_len2250_factors_10_3_5_3_5_wgs_90_tpt_90_halfLds_dp_op_CI_CI_unitstride_sbrr_C2R_dirReg
	.p2align	8
	.type	fft_rtc_back_len2250_factors_10_3_5_3_5_wgs_90_tpt_90_halfLds_dp_op_CI_CI_unitstride_sbrr_C2R_dirReg,@function
fft_rtc_back_len2250_factors_10_3_5_3_5_wgs_90_tpt_90_halfLds_dp_op_CI_CI_unitstride_sbrr_C2R_dirReg: ; @fft_rtc_back_len2250_factors_10_3_5_3_5_wgs_90_tpt_90_halfLds_dp_op_CI_CI_unitstride_sbrr_C2R_dirReg
; %bb.0:
	s_clause 0x2
	s_load_b128 s[8:11], s[0:1], 0x0
	s_load_b128 s[4:7], s[0:1], 0x58
	;; [unrolled: 1-line block ×3, first 2 shown]
	v_mul_u32_u24_e32 v1, 0x2d9, v0
	v_mov_b32_e32 v3, 0
	s_delay_alu instid0(VALU_DEP_2) | instskip(NEXT) | instid1(VALU_DEP_1)
	v_lshrrev_b32_e32 v1, 16, v1
	v_add_nc_u32_e32 v5, ttmp9, v1
	v_mov_b32_e32 v1, 0
	v_mov_b32_e32 v2, 0
	;; [unrolled: 1-line block ×3, first 2 shown]
	s_wait_kmcnt 0x0
	v_cmp_lt_u64_e64 s2, s[10:11], 2
	s_delay_alu instid0(VALU_DEP_1)
	s_and_b32 vcc_lo, exec_lo, s2
	s_cbranch_vccnz .LBB0_8
; %bb.1:
	s_load_b64 s[2:3], s[0:1], 0x10
	v_mov_b32_e32 v1, 0
	v_mov_b32_e32 v2, 0
	s_add_nc_u64 s[16:17], s[14:15], 8
	s_add_nc_u64 s[18:19], s[12:13], 8
	s_mov_b64 s[20:21], 1
	s_delay_alu instid0(VALU_DEP_1)
	v_dual_mov_b32 v183, v2 :: v_dual_mov_b32 v182, v1
	s_wait_kmcnt 0x0
	s_add_nc_u64 s[22:23], s[2:3], 8
	s_mov_b32 s3, 0
.LBB0_2:                                ; =>This Inner Loop Header: Depth=1
	s_load_b64 s[24:25], s[22:23], 0x0
                                        ; implicit-def: $vgpr184_vgpr185
	s_mov_b32 s2, exec_lo
	s_wait_kmcnt 0x0
	v_or_b32_e32 v4, s25, v6
	s_delay_alu instid0(VALU_DEP_1)
	v_cmpx_ne_u64_e32 0, v[3:4]
	s_wait_alu 0xfffe
	s_xor_b32 s26, exec_lo, s2
	s_cbranch_execz .LBB0_4
; %bb.3:                                ;   in Loop: Header=BB0_2 Depth=1
	s_cvt_f32_u32 s2, s24
	s_cvt_f32_u32 s27, s25
	s_sub_nc_u64 s[30:31], 0, s[24:25]
	s_wait_alu 0xfffe
	s_delay_alu instid0(SALU_CYCLE_1) | instskip(SKIP_1) | instid1(SALU_CYCLE_2)
	s_fmamk_f32 s2, s27, 0x4f800000, s2
	s_wait_alu 0xfffe
	v_s_rcp_f32 s2, s2
	s_delay_alu instid0(TRANS32_DEP_1) | instskip(SKIP_1) | instid1(SALU_CYCLE_2)
	s_mul_f32 s2, s2, 0x5f7ffffc
	s_wait_alu 0xfffe
	s_mul_f32 s27, s2, 0x2f800000
	s_wait_alu 0xfffe
	s_delay_alu instid0(SALU_CYCLE_2) | instskip(SKIP_1) | instid1(SALU_CYCLE_2)
	s_trunc_f32 s27, s27
	s_wait_alu 0xfffe
	s_fmamk_f32 s2, s27, 0xcf800000, s2
	s_cvt_u32_f32 s29, s27
	s_wait_alu 0xfffe
	s_delay_alu instid0(SALU_CYCLE_1) | instskip(SKIP_1) | instid1(SALU_CYCLE_2)
	s_cvt_u32_f32 s28, s2
	s_wait_alu 0xfffe
	s_mul_u64 s[34:35], s[30:31], s[28:29]
	s_wait_alu 0xfffe
	s_mul_hi_u32 s37, s28, s35
	s_mul_i32 s36, s28, s35
	s_mul_hi_u32 s2, s28, s34
	s_mul_i32 s33, s29, s34
	s_wait_alu 0xfffe
	s_add_nc_u64 s[36:37], s[2:3], s[36:37]
	s_mul_hi_u32 s27, s29, s34
	s_mul_hi_u32 s38, s29, s35
	s_add_co_u32 s2, s36, s33
	s_wait_alu 0xfffe
	s_add_co_ci_u32 s2, s37, s27
	s_mul_i32 s34, s29, s35
	s_add_co_ci_u32 s35, s38, 0
	s_wait_alu 0xfffe
	s_add_nc_u64 s[34:35], s[2:3], s[34:35]
	s_wait_alu 0xfffe
	v_add_co_u32 v4, s2, s28, s34
	s_delay_alu instid0(VALU_DEP_1) | instskip(SKIP_1) | instid1(VALU_DEP_1)
	s_cmp_lg_u32 s2, 0
	s_add_co_ci_u32 s29, s29, s35
	v_readfirstlane_b32 s28, v4
	s_wait_alu 0xfffe
	s_delay_alu instid0(VALU_DEP_1)
	s_mul_u64 s[30:31], s[30:31], s[28:29]
	s_wait_alu 0xfffe
	s_mul_hi_u32 s35, s28, s31
	s_mul_i32 s34, s28, s31
	s_mul_hi_u32 s2, s28, s30
	s_mul_i32 s33, s29, s30
	s_wait_alu 0xfffe
	s_add_nc_u64 s[34:35], s[2:3], s[34:35]
	s_mul_hi_u32 s27, s29, s30
	s_mul_hi_u32 s28, s29, s31
	s_wait_alu 0xfffe
	s_add_co_u32 s2, s34, s33
	s_add_co_ci_u32 s2, s35, s27
	s_mul_i32 s30, s29, s31
	s_add_co_ci_u32 s31, s28, 0
	s_wait_alu 0xfffe
	s_add_nc_u64 s[30:31], s[2:3], s[30:31]
	s_wait_alu 0xfffe
	v_add_co_u32 v4, s2, v4, s30
	s_delay_alu instid0(VALU_DEP_1) | instskip(SKIP_1) | instid1(VALU_DEP_1)
	s_cmp_lg_u32 s2, 0
	s_add_co_ci_u32 s2, s29, s31
	v_mul_hi_u32 v13, v5, v4
	s_wait_alu 0xfffe
	v_mad_co_u64_u32 v[7:8], null, v5, s2, 0
	v_mad_co_u64_u32 v[9:10], null, v6, v4, 0
	;; [unrolled: 1-line block ×3, first 2 shown]
	s_delay_alu instid0(VALU_DEP_3) | instskip(SKIP_1) | instid1(VALU_DEP_4)
	v_add_co_u32 v4, vcc_lo, v13, v7
	s_wait_alu 0xfffd
	v_add_co_ci_u32_e32 v7, vcc_lo, 0, v8, vcc_lo
	s_delay_alu instid0(VALU_DEP_2) | instskip(SKIP_1) | instid1(VALU_DEP_2)
	v_add_co_u32 v4, vcc_lo, v4, v9
	s_wait_alu 0xfffd
	v_add_co_ci_u32_e32 v4, vcc_lo, v7, v10, vcc_lo
	s_wait_alu 0xfffd
	v_add_co_ci_u32_e32 v7, vcc_lo, 0, v12, vcc_lo
	s_delay_alu instid0(VALU_DEP_2) | instskip(SKIP_1) | instid1(VALU_DEP_2)
	v_add_co_u32 v4, vcc_lo, v4, v11
	s_wait_alu 0xfffd
	v_add_co_ci_u32_e32 v9, vcc_lo, 0, v7, vcc_lo
	s_delay_alu instid0(VALU_DEP_2) | instskip(SKIP_1) | instid1(VALU_DEP_3)
	v_mul_lo_u32 v10, s25, v4
	v_mad_co_u64_u32 v[7:8], null, s24, v4, 0
	v_mul_lo_u32 v11, s24, v9
	s_delay_alu instid0(VALU_DEP_2) | instskip(NEXT) | instid1(VALU_DEP_2)
	v_sub_co_u32 v7, vcc_lo, v5, v7
	v_add3_u32 v8, v8, v11, v10
	s_delay_alu instid0(VALU_DEP_1) | instskip(SKIP_1) | instid1(VALU_DEP_1)
	v_sub_nc_u32_e32 v10, v6, v8
	s_wait_alu 0xfffd
	v_subrev_co_ci_u32_e64 v10, s2, s25, v10, vcc_lo
	v_add_co_u32 v11, s2, v4, 2
	s_wait_alu 0xf1ff
	v_add_co_ci_u32_e64 v12, s2, 0, v9, s2
	v_sub_co_u32 v13, s2, v7, s24
	v_sub_co_ci_u32_e32 v8, vcc_lo, v6, v8, vcc_lo
	s_wait_alu 0xf1ff
	v_subrev_co_ci_u32_e64 v10, s2, 0, v10, s2
	s_delay_alu instid0(VALU_DEP_3) | instskip(NEXT) | instid1(VALU_DEP_3)
	v_cmp_le_u32_e32 vcc_lo, s24, v13
	v_cmp_eq_u32_e64 s2, s25, v8
	s_wait_alu 0xfffd
	v_cndmask_b32_e64 v13, 0, -1, vcc_lo
	v_cmp_le_u32_e32 vcc_lo, s25, v10
	s_wait_alu 0xfffd
	v_cndmask_b32_e64 v14, 0, -1, vcc_lo
	v_cmp_le_u32_e32 vcc_lo, s24, v7
	;; [unrolled: 3-line block ×3, first 2 shown]
	s_wait_alu 0xfffd
	v_cndmask_b32_e64 v15, 0, -1, vcc_lo
	v_cmp_eq_u32_e32 vcc_lo, s25, v10
	s_wait_alu 0xf1ff
	s_delay_alu instid0(VALU_DEP_2)
	v_cndmask_b32_e64 v7, v15, v7, s2
	s_wait_alu 0xfffd
	v_cndmask_b32_e32 v10, v14, v13, vcc_lo
	v_add_co_u32 v13, vcc_lo, v4, 1
	s_wait_alu 0xfffd
	v_add_co_ci_u32_e32 v14, vcc_lo, 0, v9, vcc_lo
	s_delay_alu instid0(VALU_DEP_3) | instskip(SKIP_1) | instid1(VALU_DEP_2)
	v_cmp_ne_u32_e32 vcc_lo, 0, v10
	s_wait_alu 0xfffd
	v_cndmask_b32_e32 v8, v14, v12, vcc_lo
	v_cndmask_b32_e32 v10, v13, v11, vcc_lo
	v_cmp_ne_u32_e32 vcc_lo, 0, v7
	s_wait_alu 0xfffd
	s_delay_alu instid0(VALU_DEP_2)
	v_dual_cndmask_b32 v185, v9, v8 :: v_dual_cndmask_b32 v184, v4, v10
.LBB0_4:                                ;   in Loop: Header=BB0_2 Depth=1
	s_wait_alu 0xfffe
	s_and_not1_saveexec_b32 s2, s26
	s_cbranch_execz .LBB0_6
; %bb.5:                                ;   in Loop: Header=BB0_2 Depth=1
	v_cvt_f32_u32_e32 v4, s24
	s_sub_co_i32 s26, 0, s24
	v_mov_b32_e32 v185, v3
	s_delay_alu instid0(VALU_DEP_2) | instskip(NEXT) | instid1(TRANS32_DEP_1)
	v_rcp_iflag_f32_e32 v4, v4
	v_mul_f32_e32 v4, 0x4f7ffffe, v4
	s_delay_alu instid0(VALU_DEP_1) | instskip(SKIP_1) | instid1(VALU_DEP_1)
	v_cvt_u32_f32_e32 v4, v4
	s_wait_alu 0xfffe
	v_mul_lo_u32 v7, s26, v4
	s_delay_alu instid0(VALU_DEP_1) | instskip(NEXT) | instid1(VALU_DEP_1)
	v_mul_hi_u32 v7, v4, v7
	v_add_nc_u32_e32 v4, v4, v7
	s_delay_alu instid0(VALU_DEP_1) | instskip(NEXT) | instid1(VALU_DEP_1)
	v_mul_hi_u32 v4, v5, v4
	v_mul_lo_u32 v7, v4, s24
	v_add_nc_u32_e32 v8, 1, v4
	s_delay_alu instid0(VALU_DEP_2) | instskip(NEXT) | instid1(VALU_DEP_1)
	v_sub_nc_u32_e32 v7, v5, v7
	v_subrev_nc_u32_e32 v9, s24, v7
	v_cmp_le_u32_e32 vcc_lo, s24, v7
	s_wait_alu 0xfffd
	s_delay_alu instid0(VALU_DEP_2) | instskip(NEXT) | instid1(VALU_DEP_1)
	v_dual_cndmask_b32 v7, v7, v9 :: v_dual_cndmask_b32 v4, v4, v8
	v_cmp_le_u32_e32 vcc_lo, s24, v7
	s_delay_alu instid0(VALU_DEP_2) | instskip(SKIP_1) | instid1(VALU_DEP_1)
	v_add_nc_u32_e32 v8, 1, v4
	s_wait_alu 0xfffd
	v_cndmask_b32_e32 v184, v4, v8, vcc_lo
.LBB0_6:                                ;   in Loop: Header=BB0_2 Depth=1
	s_wait_alu 0xfffe
	s_or_b32 exec_lo, exec_lo, s2
	v_mul_lo_u32 v4, v185, s24
	s_delay_alu instid0(VALU_DEP_2)
	v_mul_lo_u32 v9, v184, s25
	s_load_b64 s[26:27], s[18:19], 0x0
	v_mad_co_u64_u32 v[7:8], null, v184, s24, 0
	s_load_b64 s[24:25], s[16:17], 0x0
	s_add_nc_u64 s[20:21], s[20:21], 1
	s_add_nc_u64 s[16:17], s[16:17], 8
	s_wait_alu 0xfffe
	v_cmp_ge_u64_e64 s2, s[20:21], s[10:11]
	s_add_nc_u64 s[18:19], s[18:19], 8
	s_add_nc_u64 s[22:23], s[22:23], 8
	v_add3_u32 v4, v8, v9, v4
	v_sub_co_u32 v5, vcc_lo, v5, v7
	s_wait_alu 0xfffd
	s_delay_alu instid0(VALU_DEP_2) | instskip(SKIP_2) | instid1(VALU_DEP_1)
	v_sub_co_ci_u32_e32 v4, vcc_lo, v6, v4, vcc_lo
	s_and_b32 vcc_lo, exec_lo, s2
	s_wait_kmcnt 0x0
	v_mul_lo_u32 v6, s26, v4
	v_mul_lo_u32 v7, s27, v5
	v_mad_co_u64_u32 v[1:2], null, s26, v5, v[1:2]
	v_mul_lo_u32 v4, s24, v4
	v_mul_lo_u32 v8, s25, v5
	v_mad_co_u64_u32 v[182:183], null, s24, v5, v[182:183]
	s_delay_alu instid0(VALU_DEP_4) | instskip(NEXT) | instid1(VALU_DEP_2)
	v_add3_u32 v2, v7, v2, v6
	v_add3_u32 v183, v8, v183, v4
	s_wait_alu 0xfffe
	s_cbranch_vccnz .LBB0_9
; %bb.7:                                ;   in Loop: Header=BB0_2 Depth=1
	v_dual_mov_b32 v5, v184 :: v_dual_mov_b32 v6, v185
	s_branch .LBB0_2
.LBB0_8:
	v_dual_mov_b32 v183, v2 :: v_dual_mov_b32 v182, v1
	v_dual_mov_b32 v185, v6 :: v_dual_mov_b32 v184, v5
.LBB0_9:
	s_load_b64 s[0:1], s[0:1], 0x28
	v_mul_hi_u32 v3, 0x2d82d83, v0
	s_lshl_b64 s[10:11], s[10:11], 3
                                        ; implicit-def: $vgpr180
	s_wait_alu 0xfffe
	s_add_nc_u64 s[2:3], s[14:15], s[10:11]
	s_wait_kmcnt 0x0
	v_cmp_gt_u64_e32 vcc_lo, s[0:1], v[184:185]
	v_cmp_le_u64_e64 s0, s[0:1], v[184:185]
	s_delay_alu instid0(VALU_DEP_1)
	s_and_saveexec_b32 s1, s0
	s_wait_alu 0xfffe
	s_xor_b32 s0, exec_lo, s1
; %bb.10:
	v_mul_u32_u24_e32 v1, 0x5a, v3
                                        ; implicit-def: $vgpr3
	s_delay_alu instid0(VALU_DEP_1)
	v_sub_nc_u32_e32 v180, v0, v1
                                        ; implicit-def: $vgpr0
                                        ; implicit-def: $vgpr1_vgpr2
; %bb.11:
	s_wait_alu 0xfffe
	s_or_saveexec_b32 s1, s0
	s_load_b64 s[2:3], s[2:3], 0x0
	s_xor_b32 exec_lo, exec_lo, s1
	s_cbranch_execz .LBB0_15
; %bb.12:
	s_add_nc_u64 s[10:11], s[12:13], s[10:11]
	v_lshlrev_b64_e32 v[1:2], 4, v[1:2]
	s_load_b64 s[10:11], s[10:11], 0x0
	s_wait_kmcnt 0x0
	v_mul_lo_u32 v6, s11, v184
	v_mul_lo_u32 v7, s10, v185
	v_mad_co_u64_u32 v[4:5], null, s10, v184, 0
	s_delay_alu instid0(VALU_DEP_1) | instskip(SKIP_1) | instid1(VALU_DEP_2)
	v_add3_u32 v5, v5, v7, v6
	v_mul_u32_u24_e32 v6, 0x5a, v3
	v_lshlrev_b64_e32 v[3:4], 4, v[4:5]
	s_delay_alu instid0(VALU_DEP_2) | instskip(NEXT) | instid1(VALU_DEP_1)
	v_sub_nc_u32_e32 v180, v0, v6
	v_lshlrev_b32_e32 v102, 4, v180
	s_delay_alu instid0(VALU_DEP_3) | instskip(SKIP_1) | instid1(VALU_DEP_4)
	v_add_co_u32 v0, s0, s4, v3
	s_wait_alu 0xf1ff
	v_add_co_ci_u32_e64 v3, s0, s5, v4, s0
	s_delay_alu instid0(VALU_DEP_2) | instskip(SKIP_1) | instid1(VALU_DEP_2)
	v_add_co_u32 v0, s0, v0, v1
	s_wait_alu 0xf1ff
	v_add_co_ci_u32_e64 v1, s0, v3, v2, s0
	s_delay_alu instid0(VALU_DEP_2) | instskip(SKIP_1) | instid1(VALU_DEP_2)
	v_add_co_u32 v98, s0, v0, v102
	s_wait_alu 0xf1ff
	v_add_co_ci_u32_e64 v99, s0, 0, v1, s0
	s_clause 0x18
	global_load_b128 v[2:5], v[98:99], off
	global_load_b128 v[6:9], v[98:99], off offset:1440
	global_load_b128 v[10:13], v[98:99], off offset:2880
	global_load_b128 v[14:17], v[98:99], off offset:4320
	global_load_b128 v[18:21], v[98:99], off offset:5760
	global_load_b128 v[22:25], v[98:99], off offset:7200
	global_load_b128 v[26:29], v[98:99], off offset:8640
	global_load_b128 v[30:33], v[98:99], off offset:10080
	global_load_b128 v[34:37], v[98:99], off offset:11520
	global_load_b128 v[38:41], v[98:99], off offset:12960
	global_load_b128 v[42:45], v[98:99], off offset:14400
	global_load_b128 v[46:49], v[98:99], off offset:15840
	global_load_b128 v[50:53], v[98:99], off offset:17280
	global_load_b128 v[54:57], v[98:99], off offset:18720
	global_load_b128 v[58:61], v[98:99], off offset:20160
	global_load_b128 v[62:65], v[98:99], off offset:21600
	global_load_b128 v[66:69], v[98:99], off offset:23040
	global_load_b128 v[70:73], v[98:99], off offset:24480
	global_load_b128 v[74:77], v[98:99], off offset:25920
	global_load_b128 v[78:81], v[98:99], off offset:27360
	global_load_b128 v[82:85], v[98:99], off offset:28800
	global_load_b128 v[86:89], v[98:99], off offset:30240
	global_load_b128 v[90:93], v[98:99], off offset:31680
	global_load_b128 v[94:97], v[98:99], off offset:33120
	global_load_b128 v[98:101], v[98:99], off offset:34560
	v_add_nc_u32_e32 v102, 0, v102
	v_cmp_eq_u32_e64 s0, 0x59, v180
	s_wait_loadcnt 0x18
	ds_store_b128 v102, v[2:5]
	s_wait_loadcnt 0x17
	ds_store_b128 v102, v[6:9] offset:1440
	s_wait_loadcnt 0x16
	ds_store_b128 v102, v[10:13] offset:2880
	;; [unrolled: 2-line block ×24, first 2 shown]
	s_and_saveexec_b32 s4, s0
	s_cbranch_execz .LBB0_14
; %bb.13:
	global_load_b128 v[0:3], v[0:1], off offset:36000
	v_mov_b32_e32 v4, 0
	v_mov_b32_e32 v180, 0x59
	s_wait_loadcnt 0x0
	ds_store_b128 v4, v[0:3] offset:36000
.LBB0_14:
	s_wait_alu 0xfffe
	s_or_b32 exec_lo, exec_lo, s4
.LBB0_15:
	s_delay_alu instid0(SALU_CYCLE_1)
	s_or_b32 exec_lo, exec_lo, s1
	v_lshlrev_b32_e32 v0, 4, v180
	global_wb scope:SCOPE_SE
	s_wait_dscnt 0x0
	s_wait_kmcnt 0x0
	s_barrier_signal -1
	s_barrier_wait -1
	global_inv scope:SCOPE_SE
	v_add_nc_u32_e32 v192, 0, v0
	v_sub_nc_u32_e32 v10, 0, v0
	s_mov_b32 s1, exec_lo
                                        ; implicit-def: $vgpr4_vgpr5
	ds_load_b64 v[6:7], v192
	ds_load_b64 v[8:9], v10 offset:36000
	s_wait_dscnt 0x0
	v_add_f64_e32 v[0:1], v[6:7], v[8:9]
	v_add_f64_e64 v[2:3], v[6:7], -v[8:9]
	v_cmpx_ne_u32_e32 0, v180
	s_wait_alu 0xfffe
	s_xor_b32 s1, exec_lo, s1
	s_cbranch_execz .LBB0_17
; %bb.16:
	v_mov_b32_e32 v181, 0
	v_add_f64_e32 v[13:14], v[6:7], v[8:9]
	v_add_f64_e64 v[15:16], v[6:7], -v[8:9]
	s_delay_alu instid0(VALU_DEP_3) | instskip(NEXT) | instid1(VALU_DEP_1)
	v_lshlrev_b64_e32 v[0:1], 4, v[180:181]
	v_add_co_u32 v0, s0, s8, v0
	s_wait_alu 0xf1ff
	s_delay_alu instid0(VALU_DEP_2)
	v_add_co_ci_u32_e64 v1, s0, s9, v1, s0
	global_load_b128 v[2:5], v[0:1], off offset:35840
	ds_load_b64 v[0:1], v10 offset:36008
	ds_load_b64 v[11:12], v192 offset:8
	s_wait_dscnt 0x0
	v_add_f64_e32 v[6:7], v[0:1], v[11:12]
	v_add_f64_e64 v[0:1], v[11:12], -v[0:1]
	s_wait_loadcnt 0x0
	v_fma_f64 v[8:9], v[15:16], v[4:5], v[13:14]
	v_fma_f64 v[11:12], -v[15:16], v[4:5], v[13:14]
	s_delay_alu instid0(VALU_DEP_3) | instskip(SKIP_1) | instid1(VALU_DEP_4)
	v_fma_f64 v[13:14], v[6:7], v[4:5], -v[0:1]
	v_fma_f64 v[4:5], v[6:7], v[4:5], v[0:1]
	v_fma_f64 v[0:1], -v[6:7], v[2:3], v[8:9]
	s_delay_alu instid0(VALU_DEP_4) | instskip(NEXT) | instid1(VALU_DEP_4)
	v_fma_f64 v[6:7], v[6:7], v[2:3], v[11:12]
	v_fma_f64 v[8:9], v[15:16], v[2:3], v[13:14]
	s_delay_alu instid0(VALU_DEP_4)
	v_fma_f64 v[2:3], v[15:16], v[2:3], v[4:5]
	v_dual_mov_b32 v4, v180 :: v_dual_mov_b32 v5, v181
	ds_store_b128 v10, v[6:9] offset:36000
.LBB0_17:
	s_wait_alu 0xfffe
	s_and_not1_saveexec_b32 s0, s1
	s_cbranch_execz .LBB0_19
; %bb.18:
	v_mov_b32_e32 v8, 0
	ds_load_b128 v[4:7], v8 offset:18000
	s_wait_dscnt 0x0
	v_add_f64_e32 v[11:12], v[4:5], v[4:5]
	v_mul_f64_e32 v[13:14], -2.0, v[6:7]
	v_mov_b32_e32 v4, 0
	v_mov_b32_e32 v5, 0
	ds_store_b128 v8, v[11:14] offset:18000
.LBB0_19:
	s_wait_alu 0xfffe
	s_or_b32 exec_lo, exec_lo, s0
	v_lshlrev_b64_e32 v[4:5], 4, v[4:5]
	s_add_nc_u64 s[0:1], s[8:9], 0x8c00
	s_wait_alu 0xfffe
	s_delay_alu instid0(VALU_DEP_1) | instskip(SKIP_1) | instid1(VALU_DEP_2)
	v_add_co_u32 v4, s0, s0, v4
	s_wait_alu 0xf1ff
	v_add_co_ci_u32_e64 v5, s0, s1, v5, s0
	v_cmp_gt_u32_e64 s0, 45, v180
	s_clause 0x1
	global_load_b128 v[6:9], v[4:5], off offset:1440
	global_load_b128 v[11:14], v[4:5], off offset:2880
	ds_store_b128 v192, v[0:3]
	ds_load_b128 v[0:3], v192 offset:1440
	ds_load_b128 v[15:18], v10 offset:34560
	global_load_b128 v[19:22], v[4:5], off offset:4320
	s_wait_dscnt 0x0
	v_add_f64_e32 v[23:24], v[0:1], v[15:16]
	v_add_f64_e32 v[25:26], v[17:18], v[2:3]
	v_add_f64_e64 v[27:28], v[0:1], -v[15:16]
	v_add_f64_e64 v[0:1], v[2:3], -v[17:18]
	s_wait_loadcnt 0x2
	s_delay_alu instid0(VALU_DEP_2) | instskip(NEXT) | instid1(VALU_DEP_2)
	v_fma_f64 v[2:3], v[27:28], v[8:9], v[23:24]
	v_fma_f64 v[15:16], v[25:26], v[8:9], v[0:1]
	v_fma_f64 v[17:18], -v[27:28], v[8:9], v[23:24]
	v_fma_f64 v[8:9], v[25:26], v[8:9], -v[0:1]
	s_delay_alu instid0(VALU_DEP_4) | instskip(NEXT) | instid1(VALU_DEP_4)
	v_fma_f64 v[0:1], -v[25:26], v[6:7], v[2:3]
	v_fma_f64 v[2:3], v[27:28], v[6:7], v[15:16]
	s_delay_alu instid0(VALU_DEP_4) | instskip(NEXT) | instid1(VALU_DEP_4)
	v_fma_f64 v[15:16], v[25:26], v[6:7], v[17:18]
	v_fma_f64 v[17:18], v[27:28], v[6:7], v[8:9]
	ds_store_b128 v192, v[0:3] offset:1440
	ds_store_b128 v10, v[15:18] offset:34560
	ds_load_b128 v[0:3], v192 offset:2880
	ds_load_b128 v[6:9], v10 offset:33120
	global_load_b128 v[15:18], v[4:5], off offset:5760
	s_wait_dscnt 0x0
	v_add_f64_e32 v[23:24], v[0:1], v[6:7]
	v_add_f64_e32 v[25:26], v[8:9], v[2:3]
	v_add_f64_e64 v[27:28], v[0:1], -v[6:7]
	v_add_f64_e64 v[0:1], v[2:3], -v[8:9]
	s_wait_loadcnt 0x2
	s_delay_alu instid0(VALU_DEP_2) | instskip(NEXT) | instid1(VALU_DEP_2)
	v_fma_f64 v[2:3], v[27:28], v[13:14], v[23:24]
	v_fma_f64 v[6:7], v[25:26], v[13:14], v[0:1]
	v_fma_f64 v[8:9], -v[27:28], v[13:14], v[23:24]
	v_fma_f64 v[13:14], v[25:26], v[13:14], -v[0:1]
	s_delay_alu instid0(VALU_DEP_4) | instskip(NEXT) | instid1(VALU_DEP_4)
	v_fma_f64 v[0:1], -v[25:26], v[11:12], v[2:3]
	v_fma_f64 v[2:3], v[27:28], v[11:12], v[6:7]
	s_delay_alu instid0(VALU_DEP_4) | instskip(NEXT) | instid1(VALU_DEP_4)
	v_fma_f64 v[6:7], v[25:26], v[11:12], v[8:9]
	v_fma_f64 v[8:9], v[27:28], v[11:12], v[13:14]
	ds_store_b128 v192, v[0:3] offset:2880
	ds_store_b128 v10, v[6:9] offset:33120
	;; [unrolled: 22-line block ×9, first 2 shown]
	ds_load_b128 v[0:3], v192 offset:14400
	ds_load_b128 v[6:9], v10 offset:21600
	s_wait_dscnt 0x0
	v_add_f64_e32 v[19:20], v[0:1], v[6:7]
	v_add_f64_e32 v[21:22], v[8:9], v[2:3]
	v_add_f64_e64 v[23:24], v[0:1], -v[6:7]
	v_add_f64_e64 v[0:1], v[2:3], -v[8:9]
	s_wait_loadcnt 0x1
	s_delay_alu instid0(VALU_DEP_2) | instskip(NEXT) | instid1(VALU_DEP_2)
	v_fma_f64 v[2:3], v[23:24], v[17:18], v[19:20]
	v_fma_f64 v[6:7], v[21:22], v[17:18], v[0:1]
	v_fma_f64 v[8:9], -v[23:24], v[17:18], v[19:20]
	v_fma_f64 v[17:18], v[21:22], v[17:18], -v[0:1]
	s_delay_alu instid0(VALU_DEP_4) | instskip(NEXT) | instid1(VALU_DEP_4)
	v_fma_f64 v[0:1], -v[21:22], v[15:16], v[2:3]
	v_fma_f64 v[2:3], v[23:24], v[15:16], v[6:7]
	s_delay_alu instid0(VALU_DEP_4) | instskip(NEXT) | instid1(VALU_DEP_4)
	v_fma_f64 v[6:7], v[21:22], v[15:16], v[8:9]
	v_fma_f64 v[8:9], v[23:24], v[15:16], v[17:18]
	ds_store_b128 v192, v[0:3] offset:14400
	ds_store_b128 v10, v[6:9] offset:21600
	ds_load_b128 v[0:3], v192 offset:15840
	ds_load_b128 v[6:9], v10 offset:20160
	s_wait_dscnt 0x0
	v_add_f64_e32 v[15:16], v[0:1], v[6:7]
	v_add_f64_e32 v[17:18], v[8:9], v[2:3]
	v_add_f64_e64 v[19:20], v[0:1], -v[6:7]
	v_add_f64_e64 v[0:1], v[2:3], -v[8:9]
	s_wait_loadcnt 0x0
	s_delay_alu instid0(VALU_DEP_2) | instskip(NEXT) | instid1(VALU_DEP_2)
	v_fma_f64 v[2:3], v[19:20], v[13:14], v[15:16]
	v_fma_f64 v[6:7], v[17:18], v[13:14], v[0:1]
	v_fma_f64 v[8:9], -v[19:20], v[13:14], v[15:16]
	v_fma_f64 v[13:14], v[17:18], v[13:14], -v[0:1]
	s_delay_alu instid0(VALU_DEP_4) | instskip(NEXT) | instid1(VALU_DEP_4)
	v_fma_f64 v[0:1], -v[17:18], v[11:12], v[2:3]
	v_fma_f64 v[2:3], v[19:20], v[11:12], v[6:7]
	s_delay_alu instid0(VALU_DEP_4) | instskip(NEXT) | instid1(VALU_DEP_4)
	v_fma_f64 v[6:7], v[17:18], v[11:12], v[8:9]
	v_fma_f64 v[8:9], v[19:20], v[11:12], v[13:14]
	ds_store_b128 v192, v[0:3] offset:15840
	ds_store_b128 v10, v[6:9] offset:20160
	s_and_saveexec_b32 s1, s0
	s_cbranch_execz .LBB0_21
; %bb.20:
	global_load_b128 v[0:3], v[4:5], off offset:17280
	ds_load_b128 v[4:7], v192 offset:17280
	ds_load_b128 v[11:14], v10 offset:18720
	s_wait_dscnt 0x0
	v_add_f64_e32 v[8:9], v[4:5], v[11:12]
	v_add_f64_e32 v[15:16], v[13:14], v[6:7]
	v_add_f64_e64 v[11:12], v[4:5], -v[11:12]
	v_add_f64_e64 v[4:5], v[6:7], -v[13:14]
	s_wait_loadcnt 0x0
	s_delay_alu instid0(VALU_DEP_2) | instskip(NEXT) | instid1(VALU_DEP_2)
	v_fma_f64 v[6:7], v[11:12], v[2:3], v[8:9]
	v_fma_f64 v[13:14], v[15:16], v[2:3], v[4:5]
	v_fma_f64 v[8:9], -v[11:12], v[2:3], v[8:9]
	v_fma_f64 v[17:18], v[15:16], v[2:3], -v[4:5]
	s_delay_alu instid0(VALU_DEP_4) | instskip(NEXT) | instid1(VALU_DEP_4)
	v_fma_f64 v[2:3], -v[15:16], v[0:1], v[6:7]
	v_fma_f64 v[4:5], v[11:12], v[0:1], v[13:14]
	s_delay_alu instid0(VALU_DEP_4) | instskip(NEXT) | instid1(VALU_DEP_4)
	v_fma_f64 v[6:7], v[15:16], v[0:1], v[8:9]
	v_fma_f64 v[8:9], v[11:12], v[0:1], v[17:18]
	ds_store_b128 v192, v[2:5] offset:17280
	ds_store_b128 v10, v[6:9] offset:18720
.LBB0_21:
	s_wait_alu 0xfffe
	s_or_b32 exec_lo, exec_lo, s1
	global_wb scope:SCOPE_SE
	s_wait_dscnt 0x0
	s_barrier_signal -1
	s_barrier_wait -1
	global_inv scope:SCOPE_SE
	global_wb scope:SCOPE_SE
	s_barrier_signal -1
	s_barrier_wait -1
	global_inv scope:SCOPE_SE
	ds_load_b128 v[126:129], v192 offset:18000
	ds_load_b128 v[56:59], v192 offset:25200
	;; [unrolled: 1-line block ×8, first 2 shown]
	ds_load_b128 v[68:71], v192
	ds_load_b128 v[52:55], v192 offset:1440
	ds_load_b128 v[88:91], v192 offset:7200
	;; [unrolled: 1-line block ×21, first 2 shown]
	s_mov_b32 s12, 0x134454ff
	s_mov_b32 s13, 0xbfee6f0e
	s_mov_b32 s11, 0x3fee6f0e
	s_mov_b32 s10, s12
	s_wait_dscnt 0x13
	v_add_f64_e32 v[108:109], v[68:69], v[88:89]
	v_add_f64_e32 v[116:117], v[70:71], v[90:91]
	s_wait_dscnt 0xf
	v_add_f64_e32 v[156:157], v[130:131], v[64:65]
	s_wait_dscnt 0xd
	v_add_f64_e32 v[162:163], v[88:89], v[8:9]
	v_add_f64_e32 v[168:169], v[132:133], v[66:67]
	;; [unrolled: 1-line block ×4, first 2 shown]
	s_mov_b32 s14, 0x4755a5e
	v_add_f64_e32 v[96:97], v[126:127], v[56:57]
	v_add_f64_e32 v[98:99], v[128:129], v[58:59]
	;; [unrolled: 1-line block ×3, first 2 shown]
	v_add_f64_e64 v[124:125], v[126:127], -v[56:57]
	v_add_f64_e64 v[122:123], v[86:87], -v[2:3]
	v_add_f64_e32 v[106:107], v[84:85], v[0:1]
	v_add_f64_e64 v[146:147], v[84:85], -v[0:1]
	s_wait_dscnt 0xb
	v_add_f64_e32 v[120:121], v[92:93], v[84:85]
	v_add_f64_e32 v[154:155], v[94:95], v[86:87]
	v_add_f64_e64 v[186:187], v[128:129], -v[58:59]
	v_add_f64_e64 v[188:189], v[84:85], -v[126:127]
	s_wait_dscnt 0x7
	v_add_f64_e32 v[197:198], v[72:73], v[138:139]
	v_add_f64_e32 v[199:200], v[74:75], v[140:141]
	v_add_f64_e64 v[201:202], v[86:87], -v[128:129]
	v_add_f64_e64 v[203:204], v[128:129], -v[86:87]
	;; [unrolled: 1-line block ×5, first 2 shown]
	s_mov_b32 s15, 0xbfe2cf23
	s_mov_b32 s17, 0x3fe2cf23
	;; [unrolled: 1-line block ×3, first 2 shown]
	v_add_f64_e64 v[114:115], v[90:91], -v[10:11]
	v_add_f64_e64 v[112:113], v[132:133], -v[66:67]
	;; [unrolled: 1-line block ×9, first 2 shown]
	v_add_f64_e32 v[176:177], v[90:91], v[10:11]
	v_add_f64_e64 v[190:191], v[126:127], -v[84:85]
	v_add_f64_e64 v[219:220], v[56:57], -v[0:1]
	v_add_f64_e32 v[221:222], v[134:135], v[60:61]
	v_add_f64_e64 v[84:85], v[136:137], -v[62:63]
	v_add_f64_e32 v[223:224], v[136:137], v[62:63]
	v_add_f64_e64 v[86:87], v[134:135], -v[60:61]
	v_add_f64_e32 v[225:226], v[100:101], v[4:5]
	v_fma_f64 v[150:151], v[96:97], -0.5, v[92:93]
	v_fma_f64 v[148:149], v[98:99], -0.5, v[94:95]
	v_fma_f64 v[152:153], v[104:105], -0.5, v[94:95]
	v_add_f64_e64 v[96:97], v[100:101], -v[134:135]
	v_add_f64_e64 v[98:99], v[102:103], -v[136:137]
	v_fma_f64 v[211:212], v[106:107], -0.5, v[92:93]
	v_add_f64_e64 v[92:93], v[134:135], -v[100:101]
	v_add_f64_e64 v[94:95], v[136:137], -v[102:103]
	v_add_f64_e32 v[227:228], v[102:103], v[6:7]
	s_wait_dscnt 0x3
	v_add_f64_e32 v[229:230], v[142:143], v[80:81]
	v_add_f64_e32 v[130:131], v[108:109], v[130:131]
	;; [unrolled: 1-line block ×10, first 2 shown]
	v_fma_f64 v[156:157], v[156:157], -0.5, v[68:69]
	v_fma_f64 v[168:169], v[168:169], -0.5, v[70:71]
	v_add_f64_e32 v[188:189], v[188:189], v[205:206]
	v_add_f64_e32 v[195:196], v[201:202], v[207:208]
	;; [unrolled: 1-line block ×3, first 2 shown]
	s_wait_dscnt 0x1
	v_add_f64_e32 v[207:208], v[140:141], v[78:79]
	v_add_f64_e32 v[237:238], v[42:43], v[46:47]
	v_fma_f64 v[68:69], v[162:163], -0.5, v[68:69]
	v_add_f64_e32 v[162:163], v[40:41], v[44:45]
	s_mov_b32 s4, 0x372fe950
	s_mov_b32 s5, 0x3fd3c6ef
	v_add_f64_e64 v[166:167], v[64:65], -v[8:9]
	v_add_f64_e64 v[174:175], v[10:11], -v[66:67]
	;; [unrolled: 1-line block ×8, first 2 shown]
	v_fma_f64 v[215:216], v[122:123], s[12:13], v[150:151]
	s_wait_alu 0xfffe
	v_fma_f64 v[213:214], v[146:147], s[10:11], v[148:149]
	v_fma_f64 v[217:218], v[124:125], s[12:13], v[152:153]
	;; [unrolled: 1-line block ×3, first 2 shown]
	v_add_f64_e64 v[102:103], v[62:63], -v[6:7]
	v_fma_f64 v[199:200], v[186:187], s[10:11], v[211:212]
	v_add_f64_e64 v[108:109], v[144:145], -v[82:83]
	v_add_f64_e64 v[231:232], v[138:139], -v[142:143]
	;; [unrolled: 1-line block ×7, first 2 shown]
	v_add_f64_e32 v[140:141], v[138:139], v[76:77]
	v_add_f64_e64 v[138:139], v[138:139], -v[76:77]
	v_add_f64_e64 v[235:236], v[82:83], -v[78:79]
	v_fma_f64 v[70:71], v[176:177], -0.5, v[70:71]
	v_add_f64_e32 v[130:131], v[130:131], v[64:65]
	v_add_f64_e32 v[132:133], v[132:133], v[66:67]
	s_wait_dscnt 0x0
	v_add_f64_e64 v[66:67], v[32:33], -v[48:49]
	v_add_f64_e64 v[64:65], v[34:35], -v[50:51]
	v_fma_f64 v[233:234], v[233:234], -0.5, v[74:75]
	v_fma_f64 v[229:230], v[229:230], -0.5, v[72:73]
	v_add_f64_e32 v[126:127], v[126:127], v[56:57]
	v_add_f64_e32 v[58:59], v[128:129], v[58:59]
	;; [unrolled: 1-line block ×4, first 2 shown]
	v_fma_f64 v[128:129], v[114:115], s[12:13], v[156:157]
	v_fma_f64 v[134:135], v[118:119], s[10:11], v[168:169]
	;; [unrolled: 1-line block ×3, first 2 shown]
	v_fma_f64 v[74:75], v[207:208], -0.5, v[74:75]
	v_fma_f64 v[207:208], v[186:187], s[12:13], v[211:212]
	v_fma_f64 v[223:224], v[223:224], -0.5, v[54:55]
	v_add_f64_e32 v[158:159], v[158:159], v[160:161]
	v_fma_f64 v[160:161], v[162:163], -0.5, v[36:37]
	v_fma_f64 v[150:151], v[122:123], s[10:11], v[150:151]
	v_add_f64_e32 v[176:177], v[16:17], v[20:21]
	v_add_f64_e64 v[56:57], v[40:41], -v[44:45]
	v_fma_f64 v[203:204], v[186:187], s[14:15], v[215:216]
	v_fma_f64 v[201:202], v[124:125], s[16:17], v[213:214]
	;; [unrolled: 1-line block ×3, first 2 shown]
	v_add_f64_e64 v[213:214], v[76:77], -v[80:81]
	v_add_f64_e64 v[215:216], v[80:81], -v[76:77]
	v_add_f64_e64 v[217:218], v[78:79], -v[82:83]
	v_add_f64_e32 v[80:81], v[154:155], v[80:81]
	v_add_f64_e32 v[82:83], v[193:194], v[82:83]
	;; [unrolled: 1-line block ×3, first 2 shown]
	v_fma_f64 v[148:149], v[122:123], s[14:15], v[199:200]
	v_fma_f64 v[146:147], v[146:147], s[14:15], v[152:153]
	v_fma_f64 v[219:220], v[221:222], -0.5, v[52:53]
	v_fma_f64 v[221:222], v[225:226], -0.5, v[52:53]
	;; [unrolled: 1-line block ×4, first 2 shown]
	v_add_f64_e64 v[211:212], v[50:51], -v[46:47]
	v_add_f64_e64 v[152:153], v[48:49], -v[44:45]
	;; [unrolled: 1-line block ×3, first 2 shown]
	v_fma_f64 v[162:163], v[112:113], s[10:11], v[68:69]
	v_fma_f64 v[227:228], v[110:111], s[12:13], v[70:71]
	v_add_f64_e32 v[8:9], v[130:131], v[8:9]
	v_add_f64_e32 v[10:11], v[132:133], v[10:11]
	v_fma_f64 v[130:131], v[138:139], s[10:11], v[233:234]
	v_fma_f64 v[132:133], v[116:117], s[12:13], v[229:230]
	v_add_f64_e32 v[0:1], v[126:127], v[0:1]
	v_add_f64_e32 v[2:3], v[58:59], v[2:3]
	;; [unrolled: 1-line block ×4, first 2 shown]
	v_fma_f64 v[62:63], v[112:113], s[14:15], v[128:129]
	v_fma_f64 v[72:73], v[140:141], -0.5, v[72:73]
	v_fma_f64 v[140:141], v[142:143], s[12:13], v[74:75]
	v_fma_f64 v[68:69], v[112:113], s[12:13], v[68:69]
	;; [unrolled: 1-line block ×4, first 2 shown]
	v_add_f64_e32 v[164:165], v[164:165], v[166:167]
	v_fma_f64 v[74:75], v[142:143], s[10:11], v[74:75]
	v_add_f64_e32 v[166:167], v[172:173], v[178:179]
	v_fma_f64 v[156:157], v[114:115], s[10:11], v[156:157]
	v_fma_f64 v[193:194], v[188:189], s[4:5], v[203:204]
	;; [unrolled: 1-line block ×4, first 2 shown]
	v_add_f64_e32 v[201:202], v[18:19], v[22:23]
	v_add_f64_e64 v[203:204], v[32:33], -v[40:41]
	v_add_f64_e64 v[205:206], v[34:35], -v[42:43]
	v_add_f64_e32 v[58:59], v[80:81], v[76:77]
	v_add_f64_e32 v[60:61], v[82:83], v[78:79]
	;; [unrolled: 1-line block ×3, first 2 shown]
	v_fma_f64 v[78:79], v[110:111], s[16:17], v[134:135]
	v_fma_f64 v[80:81], v[124:125], s[14:15], v[136:137]
	;; [unrolled: 1-line block ×3, first 2 shown]
	v_add_f64_e32 v[172:173], v[231:232], v[213:214]
	v_fma_f64 v[146:147], v[197:198], s[4:5], v[146:147]
	v_add_f64_e32 v[178:179], v[209:210], v[217:218]
	v_fma_f64 v[197:198], v[138:139], s[12:13], v[233:234]
	v_fma_f64 v[168:169], v[118:119], s[12:13], v[168:169]
	;; [unrolled: 1-line block ×6, first 2 shown]
	s_mov_b32 s18, 0x9b97f4a8
	s_mov_b32 s19, 0x3fe9e377
	;; [unrolled: 1-line block ×4, first 2 shown]
	v_add_f64_e32 v[144:145], v[144:145], v[235:236]
	v_fma_f64 v[162:163], v[114:115], s[14:15], v[162:163]
	v_fma_f64 v[186:187], v[118:119], s[16:17], v[227:228]
	;; [unrolled: 1-line block ×4, first 2 shown]
	v_add_f64_e32 v[122:123], v[8:9], v[0:1]
	v_add_f64_e32 v[124:125], v[10:11], v[2:3]
	v_add_f64_e64 v[126:127], v[8:9], -v[0:1]
	v_add_f64_e64 v[128:129], v[10:11], -v[2:3]
	v_fma_f64 v[0:1], v[158:159], s[4:5], v[62:63]
	v_fma_f64 v[62:63], v[138:139], s[16:17], v[140:141]
	;; [unrolled: 1-line block ×4, first 2 shown]
	v_mul_f64_e32 v[170:171], s[16:17], v[193:194]
	v_mul_f64_e32 v[148:149], s[14:15], v[190:191]
	;; [unrolled: 1-line block ×4, first 2 shown]
	v_fma_f64 v[74:75], v[138:139], s[14:15], v[74:75]
	v_fma_f64 v[138:139], v[176:177], -0.5, v[28:29]
	v_add_f64_e32 v[130:131], v[4:5], v[58:59]
	v_add_f64_e32 v[132:133], v[6:7], v[60:61]
	v_add_f64_e64 v[134:135], v[4:5], -v[58:59]
	v_add_f64_e64 v[136:137], v[6:7], -v[60:61]
	v_fma_f64 v[2:3], v[195:196], s[4:5], v[80:81]
	v_fma_f64 v[4:5], v[76:77], s[4:5], v[78:79]
	;; [unrolled: 1-line block ×5, first 2 shown]
	v_mul_f64_e32 v[80:81], s[12:13], v[146:147]
	v_fma_f64 v[114:115], v[142:143], s[14:15], v[197:198]
	s_wait_alu 0xfffe
	v_mul_f64_e32 v[118:119], s[20:21], v[146:147]
	v_add_f64_e64 v[54:55], v[14:15], -v[26:27]
	v_fma_f64 v[112:113], v[112:113], s[16:17], v[156:157]
	v_fma_f64 v[140:141], v[201:202], -0.5, v[30:31]
	v_add_f64_e64 v[58:59], v[12:13], -v[24:25]
	v_fma_f64 v[110:111], v[110:111], s[14:15], v[168:169]
	v_fma_f64 v[142:143], v[188:189], s[4:5], v[150:151]
	v_add_f64_e32 v[146:147], v[205:206], v[211:212]
	v_fma_f64 v[150:151], v[64:65], s[10:11], v[160:161]
	v_fma_f64 v[154:155], v[56:57], s[14:15], v[213:214]
	;; [unrolled: 1-line block ×3, first 2 shown]
	v_add_f64_e32 v[160:161], v[28:29], v[12:13]
	v_add_f64_e32 v[168:169], v[30:31], v[14:15]
	;; [unrolled: 1-line block ×3, first 2 shown]
	v_fma_f64 v[176:177], v[52:53], s[14:15], v[217:218]
	v_fma_f64 v[195:196], v[88:89], s[12:13], v[219:220]
	;; [unrolled: 1-line block ×3, first 2 shown]
	v_add_f64_e32 v[120:121], v[120:121], v[215:216]
	v_fma_f64 v[201:202], v[144:145], s[4:5], v[62:63]
	v_fma_f64 v[203:204], v[84:85], s[10:11], v[221:222]
	;; [unrolled: 1-line block ×8, first 2 shown]
	v_add_f64_e32 v[170:171], v[36:37], v[32:33]
	v_add_f64_e32 v[174:175], v[38:39], v[34:35]
	v_fma_f64 v[190:191], v[178:179], s[4:5], v[227:228]
	v_fma_f64 v[207:208], v[84:85], s[12:13], v[221:222]
	;; [unrolled: 1-line block ×6, first 2 shown]
	v_add_f64_e64 v[60:61], v[18:19], -v[22:23]
	v_fma_f64 v[72:73], v[116:117], s[16:17], v[72:73]
	v_fma_f64 v[116:117], v[88:89], s[10:11], v[219:220]
	v_add_f64_e64 v[62:63], v[16:17], -v[20:21]
	v_add_f64_e64 v[215:216], v[14:15], -v[18:19]
	v_fma_f64 v[211:212], v[54:55], s[12:13], v[138:139]
	v_fma_f64 v[138:139], v[54:55], s[10:11], v[138:139]
	v_add_f64_e64 v[217:218], v[26:27], -v[22:23]
	v_fma_f64 v[213:214], v[58:59], s[10:11], v[140:141]
	v_fma_f64 v[140:141], v[58:59], s[12:13], v[140:141]
	;; [unrolled: 1-line block ×3, first 2 shown]
	s_mov_b32 s23, 0xbfe9e377
	v_fma_f64 v[150:151], v[52:53], s[16:17], v[150:151]
	v_fma_f64 v[154:155], v[146:147], s[4:5], v[154:155]
	;; [unrolled: 1-line block ×3, first 2 shown]
	v_add_f64_e32 v[160:161], v[160:161], v[16:17]
	v_add_f64_e32 v[168:169], v[168:169], v[18:19]
	s_mov_b32 s22, s18
	v_fma_f64 v[156:157], v[152:153], s[4:5], v[176:177]
	v_mul_f64_e32 v[188:189], s[14:15], v[2:3]
	v_mul_f64_e32 v[2:3], s[22:23], v[2:3]
	v_add_f64_e32 v[96:97], v[96:97], v[104:105]
	v_add_f64_e32 v[98:99], v[98:99], v[106:107]
	v_fma_f64 v[176:177], v[84:85], s[14:15], v[195:196]
	v_fma_f64 v[195:196], v[86:87], s[16:17], v[197:198]
	v_add_f64_e32 v[92:93], v[92:93], v[100:101]
	v_add_f64_e32 v[94:95], v[94:95], v[102:103]
	v_mul_f64_e32 v[102:103], s[12:13], v[201:202]
	v_mul_f64_e32 v[197:198], s[4:5], v[201:202]
	v_fma_f64 v[82:83], v[108:109], s[16:17], v[82:83]
	v_fma_f64 v[108:109], v[178:179], s[4:5], v[114:115]
	v_add_f64_e64 v[114:115], v[12:13], -v[16:17]
	v_add_f64_e64 v[178:179], v[24:25], -v[20:21]
	v_add_f64_e32 v[170:171], v[170:171], v[40:41]
	v_add_f64_e32 v[174:175], v[174:175], v[42:43]
	v_fma_f64 v[201:202], v[90:91], s[16:17], v[205:206]
	v_fma_f64 v[90:91], v[90:91], s[14:15], v[209:210]
	;; [unrolled: 1-line block ×6, first 2 shown]
	v_mul_f64_e32 v[120:121], s[12:13], v[74:75]
	v_mul_f64_e32 v[74:75], s[20:21], v[74:75]
	v_fma_f64 v[84:85], v[84:85], s[16:17], v[116:117]
	v_fma_f64 v[86:87], v[86:87], s[14:15], v[144:145]
	;; [unrolled: 1-line block ×5, first 2 shown]
	v_mul_f64_e32 v[104:105], s[14:15], v[190:191]
	v_mul_f64_e32 v[106:107], s[16:17], v[193:194]
	v_fma_f64 v[150:151], v[152:153], s[4:5], v[150:151]
	v_mul_f64_e32 v[152:153], s[14:15], v[154:155]
	v_mul_f64_e32 v[154:155], s[22:23], v[154:155]
	v_add_f64_e32 v[160:161], v[160:161], v[20:21]
	v_add_f64_e32 v[168:169], v[168:169], v[22:23]
	v_mul_f64_e32 v[203:204], s[14:15], v[146:147]
	v_mul_f64_e32 v[205:206], s[16:17], v[156:157]
	v_fma_f64 v[162:163], v[164:165], s[4:5], v[162:163]
	v_fma_f64 v[186:187], v[166:167], s[4:5], v[186:187]
	;; [unrolled: 1-line block ×11, first 2 shown]
	v_mul_f64_e32 v[116:117], s[14:15], v[108:109]
	v_mul_f64_e32 v[108:109], s[22:23], v[108:109]
	v_add_f64_e32 v[114:115], v[114:115], v[178:179]
	v_fma_f64 v[172:173], v[62:63], s[16:17], v[213:214]
	v_add_f64_e32 v[178:179], v[215:216], v[217:218]
	v_add_f64_e32 v[170:171], v[170:171], v[44:45]
	;; [unrolled: 1-line block ×3, first 2 shown]
	v_fma_f64 v[215:216], v[94:95], s[4:5], v[90:91]
	v_fma_f64 v[176:177], v[96:97], s[4:5], v[176:177]
	;; [unrolled: 1-line block ×16, first 2 shown]
	v_add_f64_e32 v[74:75], v[160:161], v[24:25]
	v_add_f64_e32 v[93:94], v[0:1], v[6:7]
	v_fma_f64 v[78:79], v[156:157], s[18:19], v[203:204]
	v_fma_f64 v[86:87], v[146:147], s[18:19], v[205:206]
	v_add_f64_e32 v[95:96], v[4:5], v[8:9]
	v_add_f64_e64 v[97:98], v[0:1], -v[6:7]
	v_add_f64_e64 v[99:100], v[4:5], -v[8:9]
	v_add_f64_e32 v[101:102], v[162:163], v[10:11]
	v_add_f64_e64 v[105:106], v[162:163], -v[10:11]
	v_add_f64_e32 v[111:112], v[166:167], v[118:119]
	v_add_f64_e32 v[103:104], v[186:187], v[148:149]
	v_mul_u32_u24_e32 v92, 10, v180
	global_wb scope:SCOPE_SE
	s_barrier_signal -1
	s_barrier_wait -1
	v_fma_f64 v[225:226], v[82:83], s[22:23], v[116:117]
	v_fma_f64 v[227:228], v[82:83], s[16:17], v[108:109]
	;; [unrolled: 1-line block ×6, first 2 shown]
	v_add_f64_e32 v[82:83], v[168:169], v[26:27]
	v_add_f64_e32 v[76:77], v[170:171], v[48:49]
	;; [unrolled: 1-line block ×3, first 2 shown]
	v_add_f64_e64 v[115:116], v[166:167], -v[118:119]
	v_add_f64_e32 v[119:120], v[209:210], v[2:3]
	v_add_f64_e64 v[140:141], v[209:210], -v[2:3]
	v_add_f64_e32 v[109:110], v[164:165], v[207:208]
	v_add_f64_e32 v[117:118], v[158:159], v[188:189]
	v_add_f64_e64 v[107:108], v[186:187], -v[148:149]
	v_add_f64_e64 v[113:114], v[164:165], -v[207:208]
	;; [unrolled: 1-line block ×3, first 2 shown]
	v_add_f64_e32 v[150:151], v[199:200], v[211:212]
	v_add_f64_e32 v[142:143], v[176:177], v[193:194]
	;; [unrolled: 1-line block ×6, first 2 shown]
	v_add_f64_e64 v[146:147], v[176:177], -v[193:194]
	v_add_f64_e64 v[148:149], v[195:196], -v[190:191]
	;; [unrolled: 1-line block ×6, first 2 shown]
	v_lshl_add_u32 v92, v92, 4, 0
	global_inv scope:SCOPE_SE
	v_add_f64_e32 v[166:167], v[221:222], v[225:226]
	v_add_f64_e32 v[168:169], v[223:224], v[227:228]
	v_add_f64_e64 v[4:5], v[72:73], -v[78:79]
	v_add_f64_e32 v[8:9], v[68:69], v[70:71]
	v_add_f64_e64 v[6:7], v[80:81], -v[86:87]
	;; [unrolled: 2-line block ×3, first 2 shown]
	v_add_f64_e64 v[0:1], v[74:75], -v[76:77]
	v_add_f64_e64 v[2:3], v[82:83], -v[84:85]
	;; [unrolled: 1-line block ×3, first 2 shown]
	ds_store_b128 v92, v[122:125]
	ds_store_b128 v92, v[93:96] offset:16
	ds_store_b128 v92, v[101:104] offset:32
	;; [unrolled: 1-line block ×19, first 2 shown]
	s_and_saveexec_b32 s1, s0
	s_cbranch_execz .LBB0_23
; %bb.22:
	v_add_f64_e32 v[93:94], v[34:35], v[50:51]
	v_add_f64_e32 v[95:96], v[32:33], v[48:49]
	v_add_f64_e64 v[34:35], v[42:43], -v[34:35]
	v_add_f64_e32 v[42:43], v[12:13], v[24:25]
	v_add_f64_e64 v[46:47], v[46:47], -v[50:51]
	v_add_f64_e64 v[32:33], v[40:41], -v[32:33]
	;; [unrolled: 1-line block ×5, first 2 shown]
	v_fma_f64 v[38:39], v[93:94], -0.5, v[38:39]
	v_add_f64_e32 v[93:94], v[14:15], v[26:27]
	v_fma_f64 v[36:37], v[95:96], -0.5, v[36:37]
	v_fma_f64 v[28:29], v[42:43], -0.5, v[28:29]
	v_add_f64_e32 v[34:35], v[34:35], v[46:47]
	v_add_f64_e64 v[14:15], v[18:19], -v[14:15]
	v_add_f64_e64 v[18:19], v[22:23], -v[26:27]
	v_add_f64_e32 v[20:21], v[32:33], v[40:41]
	v_add_f64_e32 v[12:13], v[12:13], v[16:17]
	v_fma_f64 v[50:51], v[56:57], s[10:11], v[38:39]
	v_fma_f64 v[38:39], v[56:57], s[12:13], v[38:39]
	v_fma_f64 v[30:31], v[93:94], -0.5, v[30:31]
	v_fma_f64 v[42:43], v[52:53], s[12:13], v[36:37]
	v_fma_f64 v[36:37], v[52:53], s[10:11], v[36:37]
	;; [unrolled: 1-line block ×4, first 2 shown]
	v_add_f64_e32 v[14:15], v[14:15], v[18:19]
	v_fma_f64 v[44:45], v[66:67], s[14:15], v[50:51]
	v_fma_f64 v[38:39], v[66:67], s[16:17], v[38:39]
	;; [unrolled: 1-line block ×14, first 2 shown]
	v_mul_f64_e32 v[28:29], s[20:21], v[32:33]
	v_mul_f64_e32 v[30:31], s[4:5], v[34:35]
	;; [unrolled: 1-line block ×4, first 2 shown]
	v_fma_f64 v[38:39], v[14:15], s[4:5], v[18:19]
	v_fma_f64 v[40:41], v[12:13], s[4:5], v[22:23]
	v_fma_f64 v[12:13], v[12:13], s[4:5], v[24:25]
	v_fma_f64 v[36:37], v[14:15], s[4:5], v[16:17]
	v_add_f64_e32 v[22:23], v[82:83], v[84:85]
	v_add_f64_e32 v[18:19], v[80:81], v[86:87]
	;; [unrolled: 1-line block ×3, first 2 shown]
	v_add_f64_e64 v[14:15], v[88:89], -v[90:91]
	v_fma_f64 v[28:29], v[26:27], s[10:11], v[28:29]
	v_fma_f64 v[24:25], v[20:21], s[10:11], v[30:31]
	;; [unrolled: 1-line block ×4, first 2 shown]
	v_add_f64_e32 v[20:21], v[74:75], v[76:77]
	v_add_f64_e64 v[26:27], v[36:37], -v[28:29]
	v_add_f64_e32 v[34:35], v[38:39], v[24:25]
	v_add_f64_e32 v[32:33], v[12:13], v[42:43]
	;; [unrolled: 1-line block ×4, first 2 shown]
	v_add_f64_e64 v[38:39], v[38:39], -v[24:25]
	v_add_f64_e64 v[36:37], v[12:13], -v[42:43]
	v_add_f64_e64 v[24:25], v[40:41], -v[44:45]
	v_add_f64_e64 v[12:13], v[68:69], -v[70:71]
	ds_store_b128 v92, v[8:11] offset:28864
	ds_store_b128 v92, v[0:3] offset:28880
	;; [unrolled: 1-line block ×10, first 2 shown]
.LBB0_23:
	s_wait_alu 0xfffe
	s_or_b32 exec_lo, exec_lo, s1
	global_wb scope:SCOPE_SE
	s_wait_dscnt 0x0
	s_barrier_signal -1
	s_barrier_wait -1
	global_inv scope:SCOPE_SE
	ds_load_b128 v[24:27], v192 offset:1440
	ds_load_b128 v[12:15], v192 offset:2880
	;; [unrolled: 1-line block ×22, first 2 shown]
	ds_load_b128 v[40:43], v192
	ds_load_b128 v[64:67], v192 offset:34080
	v_cmp_gt_u32_e64 s0, 30, v180
	s_delay_alu instid0(VALU_DEP_1)
	s_and_saveexec_b32 s1, s0
	s_cbranch_execz .LBB0_25
; %bb.24:
	ds_load_b128 v[0:3], v192 offset:23520
	ds_load_b128 v[8:11], v192 offset:11520
	;; [unrolled: 1-line block ×3, first 2 shown]
.LBB0_25:
	s_wait_alu 0xfffe
	s_or_b32 exec_lo, exec_lo, s1
	v_and_b32_e32 v151, 0xff, v180
	v_add_nc_u32_e32 v195, 0x5a, v180
	v_add_nc_u32_e32 v194, 0xb4, v180
	;; [unrolled: 1-line block ×4, first 2 shown]
	v_mul_lo_u16 v108, 0xcd, v151
	v_and_b32_e32 v150, 0xff, v195
	v_and_b32_e32 v152, 0xffff, v194
	v_add_nc_u32_e32 v199, 0x1c2, v180
	v_add_nc_u32_e32 v198, 0x21c, v180
	v_lshrrev_b16 v157, 11, v108
	v_mul_lo_u16 v109, 0xcd, v150
	v_add_nc_u32_e32 v197, 0x276, v180
	v_and_b32_e32 v148, 0xffff, v181
	v_add_nc_u32_e32 v196, 0x2d0, v180
	v_mul_lo_u16 v108, v157, 10
	v_lshrrev_b16 v159, 11, v109
	v_mul_u32_u24_e32 v109, 0xcccd, v152
	v_and_b32_e32 v149, 0xffff, v193
	v_and_b32_e32 v111, 0xffff, v199
	v_sub_nc_u16 v108, v180, v108
	v_mul_u32_u24_e32 v115, 0xcccd, v148
	v_lshrrev_b32_e32 v160, 19, v109
	v_and_b32_e32 v109, 0xffff, v198
	v_mul_u32_u24_e32 v113, 0xcccd, v149
	v_and_b32_e32 v220, 0xff, v108
	v_mul_lo_u16 v108, v159, 10
	v_mul_lo_u16 v112, v160, 10
	v_and_b32_e32 v114, 0xffff, v196
	v_mul_u32_u24_e32 v111, 0xcccd, v111
	v_lshlrev_b32_e32 v110, 5, v220
	v_sub_nc_u16 v108, v195, v108
	v_sub_nc_u16 v112, v194, v112
	v_mul_u32_u24_e32 v109, 0xcccd, v109
	v_lshrrev_b32_e32 v225, 19, v115
	s_clause 0x1
	global_load_b128 v[166:169], v110, s[8:9]
	global_load_b128 v[170:173], v110, s[8:9] offset:16
	v_and_b32_e32 v158, 0xff, v108
	v_and_b32_e32 v161, 0xffff, v112
	;; [unrolled: 1-line block ×3, first 2 shown]
	v_lshrrev_b32_e32 v224, 19, v113
	v_mul_u32_u24_e32 v113, 0xcccd, v114
	v_lshlrev_b32_e32 v110, 5, v158
	v_lshrrev_b32_e32 v226, 19, v111
	v_mul_u32_u24_e32 v108, 0xcccd, v108
	v_lshrrev_b32_e32 v227, 19, v109
	v_mul_lo_u16 v109, v225, 10
	s_clause 0x1
	global_load_b128 v[174:177], v110, s[8:9]
	global_load_b128 v[186:189], v110, s[8:9] offset:16
	v_lshlrev_b32_e32 v110, 5, v161
	v_lshrrev_b32_e32 v163, 19, v108
	v_lshrrev_b32_e32 v153, 19, v113
	v_mul_lo_u16 v112, v224, 10
	v_sub_nc_u16 v108, v181, v109
	s_clause 0x1
	global_load_b128 v[200:203], v110, s[8:9]
	global_load_b128 v[204:207], v110, s[8:9] offset:16
	v_mul_lo_u16 v109, v226, 10
	v_mul_lo_u16 v110, v227, 10
	;; [unrolled: 1-line block ×4, first 2 shown]
	v_sub_nc_u16 v111, v193, v112
	v_sub_nc_u16 v117, v199, v109
	;; [unrolled: 1-line block ×5, first 2 shown]
	v_and_b32_e32 v162, 0xffff, v111
	v_and_b32_e32 v164, 0xffff, v108
	;; [unrolled: 1-line block ×6, first 2 shown]
	v_lshlrev_b32_e32 v112, 5, v162
	v_lshlrev_b32_e32 v119, 5, v164
	;; [unrolled: 1-line block ×6, first 2 shown]
	s_clause 0xb
	global_load_b128 v[108:111], v112, s[8:9] offset:16
	global_load_b128 v[112:115], v112, s[8:9]
	global_load_b128 v[120:123], v119, s[8:9]
	;; [unrolled: 1-line block ×3, first 2 shown]
	global_load_b128 v[116:119], v119, s[8:9] offset:16
	global_load_b128 v[124:127], v126, s[8:9] offset:16
	global_load_b128 v[136:139], v133, s[8:9]
	global_load_b128 v[132:135], v133, s[8:9] offset:16
	global_load_b128 v[140:143], v144, s[8:9]
	global_load_b128 v[144:147], v144, s[8:9] offset:16
	global_load_b128 v[208:211], v178, s[8:9]
	global_load_b128 v[212:215], v178, s[8:9] offset:16
	v_and_b32_e32 v157, 0xffff, v157
	v_lshlrev_b32_e32 v222, 4, v220
	s_mov_b32 s4, 0xe8584caa
	s_mov_b32 s5, 0xbfebb67a
	;; [unrolled: 1-line block ×3, first 2 shown]
	v_mul_u32_u24_e32 v157, 0x1e0, v157
	s_wait_alu 0xfffe
	s_mov_b32 s10, s4
	global_wb scope:SCOPE_SE
	s_wait_loadcnt_dscnt 0x0
	s_barrier_signal -1
	s_barrier_wait -1
	v_add3_u32 v228, 0, v157, v222
	v_and_b32_e32 v157, 0xffff, v159
	global_inv scope:SCOPE_SE
	v_mul_f64_e32 v[178:179], v[106:107], v[168:169]
	v_mul_f64_e32 v[168:169], v[104:105], v[168:169]
	;; [unrolled: 1-line block ×12, first 2 shown]
	v_fma_f64 v[104:105], v[104:105], v[166:167], v[178:179]
	v_fma_f64 v[106:107], v[106:107], v[166:167], -v[168:169]
	v_fma_f64 v[100:101], v[100:101], v[170:171], v[190:191]
	v_mul_f64_e32 v[168:169], v[74:75], v[110:111]
	v_mul_f64_e32 v[166:167], v[70:71], v[114:115]
	;; [unrolled: 1-line block ×4, first 2 shown]
	v_fma_f64 v[102:103], v[102:103], v[170:171], -v[172:173]
	v_mul_f64_e32 v[170:171], v[46:47], v[122:123]
	v_mul_f64_e32 v[122:123], v[44:45], v[122:123]
	;; [unrolled: 1-line block ×4, first 2 shown]
	v_fma_f64 v[96:97], v[96:97], v[174:175], v[216:217]
	v_fma_f64 v[98:99], v[98:99], v[174:175], -v[176:177]
	v_mul_f64_e32 v[174:175], v[78:79], v[130:131]
	v_mul_f64_e32 v[130:131], v[76:77], v[130:131]
	;; [unrolled: 1-line block ×4, first 2 shown]
	v_fma_f64 v[92:93], v[92:93], v[186:187], v[218:219]
	v_fma_f64 v[88:89], v[88:89], v[200:201], v[220:221]
	v_fma_f64 v[90:91], v[90:91], v[200:201], -v[202:203]
	v_fma_f64 v[84:85], v[84:85], v[204:205], v[222:223]
	v_fma_f64 v[86:87], v[86:87], v[204:205], -v[206:207]
	v_mul_f64_e32 v[200:201], v[2:3], v[210:211]
	v_mul_f64_e32 v[202:203], v[0:1], v[210:211]
	;; [unrolled: 1-line block ×4, first 2 shown]
	v_fma_f64 v[94:95], v[94:95], v[186:187], -v[188:189]
	v_mul_f64_e32 v[178:179], v[54:55], v[138:139]
	v_mul_f64_e32 v[138:139], v[52:53], v[138:139]
	;; [unrolled: 1-line block ×8, first 2 shown]
	v_mul_u32_u24_e32 v218, 0x1e0, v157
	v_lshlrev_b32_e32 v219, 4, v158
	v_lshlrev_b32_e32 v220, 4, v161
	v_lshlrev_b32_e32 v221, 4, v162
	v_lshlrev_b32_e32 v223, 4, v165
	v_fma_f64 v[72:73], v[72:73], v[108:109], v[168:169]
	v_fma_f64 v[68:69], v[68:69], v[112:113], v[166:167]
	v_fma_f64 v[70:71], v[70:71], v[112:113], -v[114:115]
	v_fma_f64 v[74:75], v[74:75], v[108:109], -v[110:111]
	v_mul_u32_u24_e32 v210, 0x1e0, v160
	v_fma_f64 v[108:109], v[44:45], v[120:121], v[170:171]
	v_fma_f64 v[110:111], v[46:47], v[120:121], -v[122:123]
	v_fma_f64 v[112:113], v[48:49], v[116:117], v[172:173]
	v_fma_f64 v[114:115], v[50:51], v[116:117], -v[118:119]
	v_add_f64_e32 v[116:117], v[24:25], v[96:97]
	v_add_f64_e32 v[122:123], v[26:27], v[98:99]
	v_fma_f64 v[76:77], v[76:77], v[128:129], v[174:175]
	v_fma_f64 v[78:79], v[78:79], v[128:129], -v[130:131]
	v_fma_f64 v[80:81], v[80:81], v[124:125], v[176:177]
	v_fma_f64 v[82:83], v[82:83], v[124:125], -v[126:127]
	v_add_f64_e32 v[118:119], v[96:97], v[92:93]
	v_add_f64_e32 v[124:125], v[12:13], v[88:89]
	;; [unrolled: 1-line block ×4, first 2 shown]
	v_add_f64_e64 v[128:129], v[90:91], -v[86:87]
	v_fma_f64 v[44:45], v[0:1], v[208:209], v[200:201]
	v_fma_f64 v[50:51], v[2:3], v[208:209], -v[202:203]
	v_fma_f64 v[46:47], v[4:5], v[212:213], v[204:205]
	v_fma_f64 v[48:49], v[6:7], v[212:213], -v[206:207]
	v_add_f64_e32 v[0:1], v[40:41], v[104:105]
	v_fma_f64 v[52:53], v[52:53], v[136:137], v[178:179]
	v_fma_f64 v[54:55], v[54:55], v[136:137], -v[138:139]
	v_fma_f64 v[56:57], v[56:57], v[132:133], v[186:187]
	v_fma_f64 v[58:59], v[58:59], v[132:133], -v[134:135]
	;; [unrolled: 2-line block ×4, first 2 shown]
	v_add_f64_e32 v[2:3], v[104:105], v[100:101]
	v_add_f64_e64 v[4:5], v[106:107], -v[102:103]
	v_add_f64_e32 v[6:7], v[42:43], v[106:107]
	v_add_f64_e32 v[106:107], v[106:107], v[102:103]
	v_add_f64_e64 v[120:121], v[98:99], -v[94:95]
	v_add_f64_e32 v[98:99], v[98:99], v[94:95]
	v_add_f64_e32 v[90:91], v[90:91], v[86:87]
	;; [unrolled: 1-line block ×3, first 2 shown]
	v_add_f64_e64 v[136:137], v[70:71], -v[74:75]
	v_add_f64_e32 v[138:139], v[30:31], v[70:71]
	v_add_f64_e32 v[70:71], v[70:71], v[74:75]
	;; [unrolled: 1-line block ×4, first 2 shown]
	v_add_f64_e64 v[144:145], v[110:111], -v[114:115]
	v_add_f64_e32 v[110:111], v[110:111], v[114:115]
	v_add_f64_e32 v[132:133], v[28:29], v[68:69]
	v_add_f64_e64 v[140:141], v[68:69], -v[72:73]
	v_add_f64_e32 v[68:69], v[16:17], v[108:109]
	v_add_f64_e32 v[157:158], v[76:77], v[80:81]
	v_add_f64_e32 v[161:162], v[78:79], v[82:83]
	v_add_f64_e32 v[159:160], v[32:33], v[76:77]
	v_add_f64_e64 v[169:170], v[76:77], -v[80:81]
	v_add_f64_e64 v[96:97], v[96:97], -v[92:93]
	;; [unrolled: 1-line block ×3, first 2 shown]
	v_fma_f64 v[126:127], v[126:127], -0.5, v[12:13]
	v_add_f64_e64 v[104:105], v[104:105], -v[100:101]
	v_mul_u32_u24_e32 v217, 0x1e0, v163
	v_add_f64_e32 v[177:178], v[44:45], v[46:47]
	v_add_f64_e32 v[186:187], v[50:51], v[48:49]
	v_add_f64_e64 v[204:205], v[44:45], -v[46:47]
	v_add_f64_e32 v[171:172], v[20:21], v[52:53]
	v_add_f64_e32 v[12:13], v[0:1], v[100:101]
	v_add_f64_e32 v[165:166], v[52:53], v[56:57]
	v_add_f64_e32 v[167:168], v[54:55], v[58:59]
	v_add_f64_e64 v[188:189], v[52:53], -v[56:57]
	v_add_f64_e32 v[52:53], v[36:37], v[60:61]
	v_add_f64_e32 v[76:77], v[60:61], v[64:65]
	;; [unrolled: 1-line block ×4, first 2 shown]
	v_fma_f64 v[2:3], v[2:3], -0.5, v[40:41]
	v_add_f64_e64 v[200:201], v[62:63], -v[66:67]
	v_fma_f64 v[62:63], v[106:107], -0.5, v[42:43]
	v_fma_f64 v[106:107], v[118:119], -0.5, v[24:25]
	v_add_f64_e64 v[118:119], v[50:51], -v[48:49]
	v_fma_f64 v[98:99], v[98:99], -0.5, v[26:27]
	v_fma_f64 v[0:1], v[90:91], -0.5, v[14:15]
	v_add_f64_e32 v[14:15], v[6:7], v[102:103]
	v_fma_f64 v[6:7], v[134:135], -0.5, v[28:29]
	v_add_f64_e32 v[24:25], v[116:117], v[92:93]
	v_add_f64_e32 v[26:27], v[122:123], v[94:95]
	v_fma_f64 v[92:93], v[142:143], -0.5, v[16:17]
	v_add_f64_e32 v[16:17], v[124:125], v[84:85]
	v_add_f64_e64 v[175:176], v[54:55], -v[58:59]
	v_add_f64_e32 v[54:55], v[22:23], v[54:55]
	v_lshlrev_b32_e32 v222, 4, v164
	v_add_f64_e64 v[163:164], v[78:79], -v[82:83]
	v_add_f64_e32 v[78:79], v[34:35], v[78:79]
	v_fma_f64 v[90:91], v[70:71], -0.5, v[30:31]
	v_add_f64_e64 v[108:109], v[108:109], -v[112:113]
	v_fma_f64 v[94:95], v[110:111], -0.5, v[18:19]
	v_fma_f64 v[100:101], v[157:158], -0.5, v[32:33]
	;; [unrolled: 1-line block ×3, first 2 shown]
	v_add_f64_e64 v[202:203], v[60:61], -v[64:65]
	v_add_f64_e32 v[30:31], v[138:139], v[74:75]
	v_add_f64_e32 v[32:33], v[159:160], v[80:81]
	v_fma_f64 v[122:123], v[177:178], -0.5, v[8:9]
	v_fma_f64 v[124:125], v[186:187], -0.5, v[10:11]
	v_add_f64_e32 v[18:19], v[130:131], v[86:87]
	v_add_f64_e32 v[28:29], v[132:133], v[72:73]
	s_wait_alu 0xfffe
	v_fma_f64 v[72:73], v[128:129], s[10:11], v[126:127]
	v_fma_f64 v[110:111], v[165:166], -0.5, v[20:21]
	v_add_f64_e32 v[20:21], v[68:69], v[112:113]
	v_fma_f64 v[112:113], v[167:168], -0.5, v[22:23]
	v_add_f64_e32 v[22:23], v[146:147], v[114:115]
	v_fma_f64 v[114:115], v[76:77], -0.5, v[36:37]
	v_fma_f64 v[116:117], v[173:174], -0.5, v[38:39]
	v_add_f64_e32 v[36:37], v[171:172], v[56:57]
	v_add_f64_e32 v[40:41], v[52:53], v[64:65]
	v_fma_f64 v[52:53], v[4:5], s[4:5], v[2:3]
	v_fma_f64 v[56:57], v[4:5], s[10:11], v[2:3]
	;; [unrolled: 1-line block ×3, first 2 shown]
	v_add_f64_e32 v[42:43], v[190:191], v[66:67]
	v_fma_f64 v[64:65], v[120:121], s[10:11], v[106:107]
	v_fma_f64 v[70:71], v[88:89], s[10:11], v[0:1]
	;; [unrolled: 1-line block ×9, first 2 shown]
	v_add_f64_e32 v[38:39], v[54:55], v[58:59]
	v_fma_f64 v[54:55], v[104:105], s[10:11], v[62:63]
	v_fma_f64 v[58:59], v[104:105], s[4:5], v[62:63]
	;; [unrolled: 1-line block ×3, first 2 shown]
	v_add_f64_e32 v[34:35], v[78:79], v[82:83]
	v_fma_f64 v[78:79], v[140:141], s[10:11], v[90:91]
	v_fma_f64 v[82:83], v[140:141], s[4:5], v[90:91]
	;; [unrolled: 1-line block ×20, first 2 shown]
	v_mul_u32_u24_e32 v211, 0x1e0, v224
	v_mul_u32_u24_e32 v214, 0x1e0, v225
	;; [unrolled: 1-line block ×4, first 2 shown]
	v_lshlrev_b32_e32 v116, 4, v155
	v_lshlrev_b32_e32 v117, 4, v156
	v_add3_u32 v118, 0, v218, v219
	v_add3_u32 v119, 0, v210, v220
	;; [unrolled: 1-line block ×7, first 2 shown]
	ds_store_b128 v228, v[12:15]
	ds_store_b128 v228, v[52:55] offset:160
	ds_store_b128 v228, v[56:59] offset:320
	ds_store_b128 v118, v[24:27]
	ds_store_b128 v118, v[60:63] offset:160
	ds_store_b128 v118, v[64:67] offset:320
	;; [unrolled: 3-line block ×8, first 2 shown]
	s_and_saveexec_b32 s1, s0
	s_cbranch_execz .LBB0_27
; %bb.26:
	v_add_f64_e32 v[10:11], v[10:11], v[50:51]
	v_add_f64_e32 v[8:9], v[8:9], v[44:45]
	v_mul_lo_u16 v12, v153, 30
	v_lshlrev_b32_e32 v13, 4, v154
	s_delay_alu instid0(VALU_DEP_2) | instskip(NEXT) | instid1(VALU_DEP_1)
	v_and_b32_e32 v12, 0xffff, v12
	v_lshlrev_b32_e32 v12, 4, v12
	s_delay_alu instid0(VALU_DEP_1)
	v_add3_u32 v12, 0, v13, v12
	v_add_f64_e32 v[10:11], v[10:11], v[48:49]
	v_add_f64_e32 v[8:9], v[8:9], v[46:47]
	ds_store_b128 v12, v[8:11]
	ds_store_b128 v12, v[0:3] offset:160
	ds_store_b128 v12, v[4:7] offset:320
.LBB0_27:
	s_wait_alu 0xfffe
	s_or_b32 exec_lo, exec_lo, s1
	v_mul_lo_u16 v8, 0x89, v151
	global_wb scope:SCOPE_SE
	s_wait_dscnt 0x0
	s_barrier_signal -1
	s_barrier_wait -1
	global_inv scope:SCOPE_SE
	v_lshrrev_b16 v205, 12, v8
	v_mul_u32_u24_e32 v18, 0x8889, v152
	v_mul_u32_u24_e32 v19, 0x8889, v149
	s_mov_b32 s14, 0x134454ff
	s_mov_b32 s15, 0xbfee6f0e
	v_mul_lo_u16 v8, v205, 30
	v_lshrrev_b32_e32 v207, 20, v18
	v_lshrrev_b32_e32 v208, 20, v19
	v_mul_u32_u24_e32 v18, 0x8889, v148
	s_mov_b32 s17, 0x3fee6f0e
	v_sub_nc_u16 v8, v180, v8
	v_mul_u32_u24_e32 v248, 0x960, v207
	v_mul_lo_u16 v19, v208, 30
	v_lshrrev_b32_e32 v209, 20, v18
	v_mul_u32_u24_e32 v249, 0x960, v208
	v_and_b32_e32 v204, 0xff, v8
	v_mul_lo_u16 v8, 0x89, v150
	v_sub_nc_u16 v24, v193, v19
	v_mul_lo_u16 v33, v209, 30
	v_mul_u32_u24_e32 v250, 0x960, v209
	v_lshlrev_b32_e32 v16, 6, v204
	v_lshrrev_b16 v206, 12, v8
	v_and_b32_e32 v202, 0xffff, v24
	v_sub_nc_u16 v33, v181, v33
	v_lshlrev_b32_e32 v253, 4, v204
	s_clause 0x1
	global_load_b128 v[8:11], v16, s[8:9] offset:320
	global_load_b128 v[12:15], v16, s[8:9] offset:336
	v_mul_lo_u16 v17, v206, 30
	s_clause 0x1
	global_load_b128 v[56:59], v16, s[8:9] offset:352
	global_load_b128 v[60:63], v16, s[8:9] offset:368
	v_lshlrev_b32_e32 v36, 6, v202
	v_and_b32_e32 v203, 0xffff, v33
	v_sub_nc_u16 v17, v195, v17
	s_wait_alu 0xfffe
	s_mov_b32 s16, s14
	s_mov_b32 s10, 0x4755a5e
	;; [unrolled: 1-line block ×3, first 2 shown]
	v_lshlrev_b32_e32 v64, 6, v203
	v_and_b32_e32 v200, 0xff, v17
	v_mul_lo_u16 v17, v207, 30
	s_mov_b32 s13, 0x3fe2cf23
	s_wait_alu 0xfffe
	s_mov_b32 s12, s10
	s_mov_b32 s4, 0x372fe950
	v_lshlrev_b32_e32 v16, 6, v200
	v_sub_nc_u16 v17, v194, v17
	s_mov_b32 s5, 0x3fd3c6ef
	s_clause 0x1
	global_load_b128 v[108:111], v16, s[8:9] offset:320
	global_load_b128 v[112:115], v16, s[8:9] offset:336
	v_and_b32_e32 v201, 0xffff, v17
	s_clause 0x1
	global_load_b128 v[20:23], v16, s[8:9] offset:352
	global_load_b128 v[16:19], v16, s[8:9] offset:368
	v_lshlrev_b32_e32 v32, 6, v201
	s_clause 0xb
	global_load_b128 v[28:31], v32, s[8:9] offset:320
	global_load_b128 v[24:27], v32, s[8:9] offset:336
	;; [unrolled: 1-line block ×12, first 2 shown]
	ds_load_b128 v[132:135], v192 offset:7200
	ds_load_b128 v[128:131], v192 offset:14400
	;; [unrolled: 1-line block ×21, first 2 shown]
	ds_load_b128 v[124:127], v192
	ds_load_b128 v[116:119], v192 offset:1440
	ds_load_b128 v[210:213], v192 offset:2880
	;; [unrolled: 1-line block ×3, first 2 shown]
	global_wb scope:SCOPE_SE
	s_wait_loadcnt_dscnt 0x0
	s_barrier_signal -1
	s_barrier_wait -1
	global_inv scope:SCOPE_SE
	v_mul_f64_e32 v[186:187], v[134:135], v[10:11]
	v_mul_f64_e32 v[10:11], v[132:133], v[10:11]
	;; [unrolled: 1-line block ×19, first 2 shown]
	v_fma_f64 v[132:133], v[132:133], v[8:9], v[186:187]
	v_fma_f64 v[8:9], v[134:135], v[8:9], -v[10:11]
	v_mul_f64_e32 v[10:11], v[176:177], v[26:27]
	v_mul_f64_e32 v[26:27], v[102:103], v[50:51]
	v_mul_f64_e32 v[50:51], v[100:101], v[50:51]
	v_mul_f64_e32 v[134:135], v[98:99], v[46:47]
	v_fma_f64 v[128:129], v[128:129], v[12:13], v[188:189]
	v_fma_f64 v[12:13], v[130:131], v[12:13], -v[14:15]
	v_mul_f64_e32 v[14:15], v[96:97], v[46:47]
	v_mul_f64_e32 v[46:47], v[170:171], v[42:43]
	v_mul_f64_e32 v[42:43], v[168:169], v[42:43]
	v_mul_f64_e32 v[130:131], v[162:163], v[54:55]
	;; [unrolled: 6-line block ×3, first 2 shown]
	v_mul_f64_e32 v[38:39], v[172:173], v[38:39]
	v_fma_f64 v[144:145], v[144:145], v[60:61], v[218:219]
	v_fma_f64 v[60:61], v[146:147], v[60:61], -v[62:63]
	v_mul_f64_e32 v[62:63], v[150:151], v[78:79]
	v_mul_f64_e32 v[78:79], v[148:149], v[78:79]
	;; [unrolled: 1-line block ×3, first 2 shown]
	v_fma_f64 v[104:105], v[104:105], v[20:21], v[224:225]
	v_fma_f64 v[20:21], v[106:107], v[20:21], -v[22:23]
	v_fma_f64 v[22:23], v[88:89], v[16:17], v[226:227]
	v_fma_f64 v[18:19], v[90:91], v[16:17], -v[18:19]
	;; [unrolled: 2-line block ×3, first 2 shown]
	v_mul_f64_e32 v[74:75], v[84:85], v[74:75]
	v_mul_f64_e32 v[110:111], v[154:155], v[70:71]
	;; [unrolled: 1-line block ×4, first 2 shown]
	v_fma_f64 v[16:17], v[92:93], v[28:29], v[228:229]
	v_fma_f64 v[28:29], v[94:95], v[28:29], -v[30:31]
	v_fma_f64 v[30:31], v[176:177], v[24:25], v[230:231]
	v_fma_f64 v[120:121], v[120:121], v[112:113], v[222:223]
	v_fma_f64 v[112:113], v[122:123], v[112:113], -v[114:115]
	v_mul_f64_e32 v[66:67], v[156:157], v[66:67]
	v_fma_f64 v[10:11], v[178:179], v[24:25], -v[10:11]
	v_fma_f64 v[24:25], v[100:101], v[48:49], v[26:27]
	v_fma_f64 v[26:27], v[102:103], v[48:49], -v[50:51]
	v_fma_f64 v[48:49], v[96:97], v[44:45], v[134:135]
	v_and_b32_e32 v114, 0xffff, v205
	v_and_b32_e32 v115, 0xffff, v206
	v_fma_f64 v[44:45], v[98:99], v[44:45], -v[14:15]
	v_fma_f64 v[14:15], v[168:169], v[40:41], v[46:47]
	v_fma_f64 v[40:41], v[170:171], v[40:41], -v[42:43]
	v_fma_f64 v[42:43], v[160:161], v[52:53], v[130:131]
	v_add_f64_e32 v[88:89], v[126:127], v[8:9]
	v_add_f64_e32 v[90:91], v[12:13], v[56:57]
	v_fma_f64 v[46:47], v[162:163], v[52:53], -v[54:55]
	v_fma_f64 v[50:51], v[164:165], v[32:33], v[58:59]
	v_fma_f64 v[32:33], v[166:167], v[32:33], -v[34:35]
	v_fma_f64 v[52:53], v[172:173], v[36:37], v[142:143]
	v_fma_f64 v[34:35], v[174:175], v[36:37], -v[38:39]
	v_mul_u32_u24_e32 v251, 0x960, v114
	v_add_f64_e32 v[92:93], v[8:9], v[60:61]
	v_fma_f64 v[36:37], v[148:149], v[76:77], v[62:63]
	v_fma_f64 v[38:39], v[150:151], v[76:77], -v[78:79]
	v_fma_f64 v[54:55], v[84:85], v[72:73], v[146:147]
	v_add_f64_e32 v[78:79], v[132:133], v[144:145]
	v_add_f64_e64 v[76:77], v[144:145], -v[140:141]
	v_mul_u32_u24_e32 v252, 0x960, v115
	v_add_f64_e64 v[84:85], v[128:129], -v[132:133]
	v_add_f64_e32 v[100:101], v[136:137], v[22:23]
	v_add_f64_e32 v[106:107], v[108:109], v[18:19]
	v_fma_f64 v[58:59], v[86:87], v[72:73], -v[74:75]
	v_fma_f64 v[62:63], v[152:153], v[68:69], v[110:111]
	v_fma_f64 v[68:69], v[154:155], v[68:69], -v[70:71]
	v_fma_f64 v[70:71], v[156:157], v[64:65], v[138:139]
	v_add_f64_e32 v[72:73], v[128:129], v[140:141]
	v_add_f64_e64 v[74:75], v[132:133], -v[128:129]
	v_add_f64_e64 v[156:157], v[22:23], -v[104:105]
	v_add_f64_e32 v[98:99], v[120:121], v[104:105]
	v_add_f64_e32 v[102:103], v[112:113], v[20:21]
	v_fma_f64 v[64:65], v[158:159], v[64:65], -v[66:67]
	v_add_f64_e32 v[66:67], v[124:125], v[132:133]
	v_add_f64_e32 v[122:123], v[30:31], v[24:25]
	;; [unrolled: 1-line block ×4, first 2 shown]
	v_add_f64_e64 v[146:147], v[136:137], -v[120:121]
	v_add_f64_e64 v[86:87], v[140:141], -v[144:145]
	v_add_f64_e32 v[138:139], v[28:29], v[44:45]
	v_add_f64_e64 v[94:95], v[8:9], -v[12:13]
	v_add_f64_e64 v[96:97], v[60:61], -v[56:57]
	;; [unrolled: 1-line block ×6, first 2 shown]
	v_add_f64_e32 v[142:143], v[116:117], v[136:137]
	v_add_f64_e32 v[148:149], v[42:43], v[50:51]
	;; [unrolled: 1-line block ×5, first 2 shown]
	v_add_f64_e64 v[164:165], v[108:109], -v[112:113]
	v_add_f64_e64 v[166:167], v[18:19], -v[20:21]
	v_add_f64_e32 v[172:173], v[210:211], v[16:17]
	v_add_f64_e32 v[222:223], v[212:213], v[28:29]
	v_add_f64_e32 v[162:163], v[118:119], v[108:109]
	v_add_f64_e32 v[224:225], v[214:215], v[14:15]
	v_add_f64_e32 v[242:243], v[80:81], v[36:37]
	v_add_f64_e64 v[168:169], v[112:113], -v[108:109]
	v_add_f64_e64 v[170:171], v[20:21], -v[18:19]
	;; [unrolled: 1-line block ×4, first 2 shown]
	v_add_f64_e32 v[226:227], v[216:217], v[40:41]
	v_fma_f64 v[78:79], v[78:79], -0.5, v[124:125]
	v_fma_f64 v[100:101], v[100:101], -0.5, v[116:117]
	;; [unrolled: 1-line block ×3, first 2 shown]
	v_add_f64_e32 v[124:125], v[54:55], v[62:63]
	v_fma_f64 v[106:107], v[106:107], -0.5, v[118:119]
	v_fma_f64 v[98:99], v[98:99], -0.5, v[116:117]
	;; [unrolled: 1-line block ×3, first 2 shown]
	v_add_f64_e64 v[116:117], v[54:55], -v[36:37]
	v_add_f64_e64 v[118:119], v[62:63], -v[70:71]
	v_fma_f64 v[122:123], v[122:123], -0.5, v[210:211]
	v_fma_f64 v[134:135], v[134:135], -0.5, v[212:213]
	;; [unrolled: 1-line block ×3, first 2 shown]
	v_add_f64_e32 v[210:211], v[82:83], v[38:39]
	v_fma_f64 v[90:91], v[90:91], -0.5, v[126:127]
	v_fma_f64 v[138:139], v[138:139], -0.5, v[212:213]
	v_add_f64_e32 v[212:213], v[58:59], v[68:69]
	v_fma_f64 v[92:93], v[92:93], -0.5, v[126:127]
	v_add_f64_e32 v[126:127], v[36:37], v[70:71]
	v_add_f64_e32 v[74:75], v[74:75], v[76:77]
	;; [unrolled: 1-line block ×3, first 2 shown]
	v_add_f64_e64 v[8:9], v[8:9], -v[60:61]
	v_add_f64_e32 v[146:147], v[146:147], v[156:157]
	v_add_f64_e64 v[156:157], v[12:13], -v[56:57]
	v_add_f64_e64 v[132:133], v[132:133], -v[144:145]
	v_add_f64_e32 v[66:67], v[66:67], v[128:129]
	v_add_f64_e32 v[12:13], v[88:89], v[12:13]
	v_add_f64_e64 v[178:179], v[30:31], -v[16:17]
	v_add_f64_e64 v[186:187], v[24:25], -v[48:49]
	;; [unrolled: 1-line block ×4, first 2 shown]
	v_add_f64_e32 v[84:85], v[84:85], v[86:87]
	v_add_f64_e64 v[86:87], v[58:59], -v[38:39]
	v_add_f64_e32 v[94:95], v[94:95], v[96:97]
	v_add_f64_e64 v[96:97], v[128:129], -v[140:141]
	;; [unrolled: 2-line block ×3, first 2 shown]
	v_add_f64_e64 v[208:209], v[14:15], -v[42:43]
	v_add_f64_e64 v[218:219], v[52:53], -v[50:51]
	;; [unrolled: 1-line block ×3, first 2 shown]
	v_add_f64_e32 v[158:159], v[158:159], v[160:161]
	v_add_f64_e64 v[160:161], v[112:113], -v[20:21]
	v_add_f64_e64 v[136:137], v[136:137], -v[22:23]
	;; [unrolled: 1-line block ×3, first 2 shown]
	v_fma_f64 v[148:149], v[148:149], -0.5, v[214:215]
	v_fma_f64 v[150:151], v[150:151], -0.5, v[214:215]
	;; [unrolled: 1-line block ×4, first 2 shown]
	v_add_f64_e64 v[214:215], v[38:39], -v[58:59]
	v_add_f64_e64 v[216:217], v[64:65], -v[68:69]
	;; [unrolled: 1-line block ×4, first 2 shown]
	v_add_f64_e32 v[14:15], v[142:143], v[120:121]
	v_add_f64_e64 v[188:189], v[28:29], -v[10:11]
	v_add_f64_e64 v[28:29], v[28:29], -v[44:45]
	;; [unrolled: 1-line block ×4, first 2 shown]
	v_add_f64_e32 v[164:165], v[164:165], v[166:167]
	v_add_f64_e64 v[166:167], v[30:31], -v[24:25]
	v_add_f64_e32 v[30:31], v[172:173], v[30:31]
	v_add_f64_e32 v[10:11], v[222:223], v[10:11]
	v_add_f64_e64 v[230:231], v[40:41], -v[46:47]
	v_add_f64_e64 v[234:235], v[46:47], -v[40:41]
	;; [unrolled: 1-line block ×5, first 2 shown]
	v_add_f64_e32 v[16:17], v[162:163], v[112:113]
	v_add_f64_e64 v[112:113], v[54:55], -v[62:63]
	v_add_f64_e32 v[42:43], v[224:225], v[42:43]
	v_add_f64_e32 v[54:55], v[242:243], v[54:55]
	;; [unrolled: 1-line block ×3, first 2 shown]
	v_add_f64_e64 v[170:171], v[46:47], -v[32:33]
	v_add_f64_e32 v[142:143], v[174:175], v[176:177]
	v_add_f64_e64 v[174:175], v[58:59], -v[68:69]
	v_add_f64_e32 v[46:47], v[226:227], v[46:47]
	v_add_f64_e32 v[58:59], v[210:211], v[58:59]
	v_add_f64_e64 v[228:229], v[50:51], -v[52:53]
	v_add_f64_e64 v[38:39], v[38:39], -v[64:65]
	;; [unrolled: 1-line block ×3, first 2 shown]
	v_fma_f64 v[124:125], v[124:125], -0.5, v[80:81]
	v_add_f64_e32 v[116:117], v[116:117], v[118:119]
	v_fma_f64 v[118:119], v[212:213], -0.5, v[82:83]
	v_fma_f64 v[80:81], v[126:127], -0.5, v[80:81]
	;; [unrolled: 1-line block ×3, first 2 shown]
	v_add_f64_e32 v[66:67], v[66:67], v[140:141]
	v_add_f64_e32 v[56:57], v[12:13], v[56:57]
	v_fma_f64 v[82:83], v[8:9], s[14:15], v[72:73]
	v_fma_f64 v[72:73], v[8:9], s[16:17], v[72:73]
	v_fma_f64 v[140:141], v[132:133], s[16:17], v[90:91]
	v_add_f64_e32 v[162:163], v[178:179], v[186:187]
	v_add_f64_e32 v[178:179], v[204:205], v[206:207]
	;; [unrolled: 1-line block ×3, first 2 shown]
	v_fma_f64 v[86:87], v[156:157], s[16:17], v[78:79]
	v_fma_f64 v[206:207], v[96:97], s[14:15], v[92:93]
	;; [unrolled: 1-line block ×5, first 2 shown]
	v_add_f64_e32 v[172:173], v[208:209], v[218:219]
	v_fma_f64 v[208:209], v[108:109], s[14:15], v[98:99]
	v_fma_f64 v[98:99], v[108:109], s[16:17], v[98:99]
	;; [unrolled: 1-line block ×5, first 2 shown]
	v_add_f64_e32 v[126:127], v[214:215], v[216:217]
	v_add_f64_e32 v[104:105], v[14:15], v[104:105]
	v_fma_f64 v[214:215], v[128:129], s[14:15], v[106:107]
	v_fma_f64 v[106:107], v[128:129], s[16:17], v[106:107]
	;; [unrolled: 1-line block ×3, first 2 shown]
	v_add_f64_e64 v[190:191], v[44:45], -v[26:27]
	v_add_f64_e32 v[24:25], v[30:31], v[24:25]
	v_fma_f64 v[30:31], v[28:29], s[14:15], v[122:123]
	v_add_f64_e32 v[10:11], v[10:11], v[26:27]
	v_fma_f64 v[216:217], v[244:245], s[16:17], v[134:135]
	v_fma_f64 v[122:123], v[28:29], s[16:17], v[122:123]
	;; [unrolled: 1-line block ×7, first 2 shown]
	v_add_f64_e64 v[232:233], v[34:35], -v[32:33]
	v_add_f64_e64 v[240:241], v[70:71], -v[62:63]
	v_add_f64_e32 v[42:43], v[42:43], v[50:51]
	v_fma_f64 v[50:51], v[40:41], s[14:15], v[148:149]
	v_fma_f64 v[148:149], v[40:41], s[16:17], v[148:149]
	v_add_f64_e32 v[54:55], v[54:55], v[62:63]
	v_fma_f64 v[62:63], v[246:247], s[16:17], v[152:153]
	v_add_f64_e64 v[236:237], v[32:33], -v[34:35]
	v_add_f64_e32 v[32:33], v[46:47], v[32:33]
	v_fma_f64 v[46:47], v[170:171], s[16:17], v[150:151]
	v_fma_f64 v[150:151], v[170:171], s[14:15], v[150:151]
	v_add_f64_e32 v[58:59], v[58:59], v[68:69]
	v_fma_f64 v[68:69], v[120:121], s[14:15], v[154:155]
	v_fma_f64 v[152:153], v[246:247], s[14:15], v[152:153]
	;; [unrolled: 1-line block ×3, first 2 shown]
	v_add_f64_e32 v[186:187], v[220:221], v[228:229]
	v_fma_f64 v[220:221], v[38:39], s[14:15], v[124:125]
	v_fma_f64 v[224:225], v[36:37], s[16:17], v[118:119]
	;; [unrolled: 1-line block ×8, first 2 shown]
	v_add_f64_e32 v[14:15], v[56:57], v[60:61]
	v_fma_f64 v[56:57], v[156:157], s[10:11], v[82:83]
	s_wait_alu 0xfffe
	v_fma_f64 v[60:61], v[156:157], s[12:13], v[72:73]
	v_fma_f64 v[72:73], v[96:97], s[12:13], v[140:141]
	v_add_f64_e32 v[20:21], v[16:17], v[20:21]
	v_add_f64_e32 v[12:13], v[66:67], v[144:145]
	v_fma_f64 v[66:67], v[8:9], s[10:11], v[86:87]
	v_fma_f64 v[82:83], v[132:133], s[12:13], v[206:207]
	;; [unrolled: 1-line block ×9, first 2 shown]
	v_add_f64_e32 v[16:17], v[104:105], v[22:23]
	v_fma_f64 v[96:97], v[108:109], s[10:11], v[210:211]
	v_fma_f64 v[104:105], v[136:137], s[12:13], v[214:215]
	;; [unrolled: 1-line block ×4, first 2 shown]
	v_add_f64_e32 v[176:177], v[188:189], v[190:191]
	v_fma_f64 v[108:109], v[88:89], s[10:11], v[30:31]
	v_add_f64_e32 v[22:23], v[10:11], v[44:45]
	v_fma_f64 v[10:11], v[166:167], s[12:13], v[216:217]
	v_fma_f64 v[88:89], v[88:89], s[12:13], v[122:123]
	;; [unrolled: 1-line block ×7, first 2 shown]
	v_add_f64_e32 v[188:189], v[230:231], v[232:233]
	v_fma_f64 v[136:137], v[170:171], s[10:11], v[50:51]
	v_fma_f64 v[138:139], v[170:171], s[12:13], v[148:149]
	;; [unrolled: 1-line block ×3, first 2 shown]
	v_add_f64_e32 v[190:191], v[234:235], v[236:237]
	v_fma_f64 v[140:141], v[40:41], s[10:11], v[46:47]
	v_fma_f64 v[144:145], v[40:41], s[12:13], v[150:151]
	;; [unrolled: 1-line block ×5, first 2 shown]
	v_add_f64_e32 v[204:205], v[238:239], v[240:241]
	v_fma_f64 v[154:155], v[174:175], s[10:11], v[220:221]
	v_fma_f64 v[166:167], v[112:113], s[12:13], v[224:225]
	;; [unrolled: 1-line block ×8, first 2 shown]
	v_add_f64_e32 v[26:27], v[32:33], v[34:35]
	v_fma_f64 v[32:33], v[74:75], s[4:5], v[56:57]
	v_fma_f64 v[34:35], v[94:95], s[4:5], v[72:73]
	v_add_f64_e32 v[18:19], v[20:21], v[18:19]
	v_add_f64_e32 v[20:21], v[24:25], v[48:49]
	;; [unrolled: 1-line block ×3, first 2 shown]
	v_fma_f64 v[40:41], v[84:85], s[4:5], v[66:67]
	v_fma_f64 v[42:43], v[110:111], s[4:5], v[82:83]
	;; [unrolled: 1-line block ×8, first 2 shown]
	v_add_f64_e32 v[30:31], v[58:59], v[64:65]
	v_fma_f64 v[56:57], v[158:159], s[4:5], v[96:97]
	v_fma_f64 v[58:59], v[168:169], s[4:5], v[104:105]
	;; [unrolled: 1-line block ×4, first 2 shown]
	v_add_f64_e32 v[28:29], v[54:55], v[70:71]
	v_fma_f64 v[52:53], v[146:147], s[4:5], v[92:93]
	v_fma_f64 v[54:55], v[164:165], s[4:5], v[102:103]
	;; [unrolled: 1-line block ×26, first 2 shown]
	v_lshlrev_b32_e32 v108, 4, v200
	v_lshlrev_b32_e32 v109, 4, v201
	;; [unrolled: 1-line block ×4, first 2 shown]
	v_add3_u32 v112, 0, v251, v253
	v_add3_u32 v108, 0, v252, v108
	v_add3_u32 v109, 0, v248, v109
	v_add3_u32 v110, 0, v249, v110
	v_add3_u32 v111, 0, v250, v111
	ds_store_b128 v112, v[12:15]
	ds_store_b128 v112, v[32:35] offset:480
	ds_store_b128 v112, v[40:43] offset:960
	ds_store_b128 v112, v[44:47] offset:1440
	ds_store_b128 v112, v[36:39] offset:1920
	ds_store_b128 v108, v[16:19]
	ds_store_b128 v108, v[48:51] offset:480
	ds_store_b128 v108, v[56:59] offset:960
	ds_store_b128 v108, v[60:63] offset:1440
	ds_store_b128 v108, v[52:55] offset:1920
	;; [unrolled: 5-line block ×5, first 2 shown]
	global_wb scope:SCOPE_SE
	s_wait_dscnt 0x0
	s_barrier_signal -1
	s_barrier_wait -1
	global_inv scope:SCOPE_SE
	ds_load_b128 v[12:15], v192 offset:1440
	ds_load_b128 v[36:39], v192 offset:2880
	;; [unrolled: 1-line block ×22, first 2 shown]
	ds_load_b128 v[40:43], v192
	ds_load_b128 v[72:75], v192 offset:34080
	s_and_saveexec_b32 s1, s0
	s_cbranch_execz .LBB0_29
; %bb.28:
	ds_load_b128 v[0:3], v192 offset:23520
	ds_load_b128 v[8:11], v192 offset:11520
	;; [unrolled: 1-line block ×3, first 2 shown]
.LBB0_29:
	s_wait_alu 0xfffe
	s_or_b32 exec_lo, exec_lo, s1
	v_subrev_nc_u32_e32 v110, 60, v180
	v_cmp_gt_u32_e64 s1, 60, v180
	v_dual_mov_b32 v109, 0 :: v_dual_lshlrev_b32 v108, 1, v180
	v_lshrrev_b16 v125, 1, v193
	s_mov_b32 s4, 0xe8584caa
	s_wait_alu 0xf1ff
	v_cndmask_b32_e64 v110, v110, v195, s1
	s_mov_b32 s5, 0xbfebb67a
	v_lshlrev_b64_e32 v[111:112], 4, v[108:109]
	v_mov_b32_e32 v114, v109
	v_add_nc_u32_e32 v108, 60, v108
	v_lshlrev_b32_e32 v113, 1, v110
	s_mov_b32 s11, 0x3febb67a
	s_wait_alu 0xfffe
	s_mov_b32 s10, s4
	v_add_co_u32 v111, s1, s8, v111
	v_lshlrev_b64_e32 v[113:114], 4, v[113:114]
	s_wait_alu 0xf1ff
	v_add_co_ci_u32_e64 v112, s1, s9, v112, s1
	v_lshlrev_b64_e32 v[115:116], 4, v[108:109]
	v_and_b32_e32 v108, 0xffff, v125
	v_lshrrev_b16 v125, 1, v181
	s_clause 0x1
	global_load_b128 v[117:120], v[111:112], off offset:2256
	global_load_b128 v[121:124], v[111:112], off offset:2240
	v_add_co_u32 v111, s1, s8, v113
	s_wait_alu 0xf1ff
	v_add_co_ci_u32_e64 v112, s1, s9, v114, s1
	v_add_co_u32 v113, s1, s8, v115
	v_and_b32_e32 v115, 0xffff, v125
	s_wait_alu 0xf1ff
	v_add_co_ci_u32_e64 v114, s1, s9, v116, s1
	s_clause 0x1
	global_load_b128 v[125:128], v[111:112], off offset:2256
	global_load_b128 v[129:132], v[111:112], off offset:2240
	v_lshrrev_b16 v111, 1, v199
	v_mul_u32_u24_e32 v108, 0xda75, v108
	v_mul_u32_u24_e32 v112, 0xda75, v115
	s_clause 0x1
	global_load_b128 v[133:136], v[113:114], off offset:2256
	global_load_b128 v[137:140], v[113:114], off offset:2240
	v_lshrrev_b16 v113, 1, v198
	v_and_b32_e32 v111, 0xffff, v111
	v_lshrrev_b32_e32 v114, 22, v108
	v_lshrrev_b32_e32 v108, 22, v112
	v_lshrrev_b16 v112, 1, v197
	v_and_b32_e32 v113, 0xffff, v113
	v_mul_u32_u24_e32 v111, 0xda75, v111
	v_mul_lo_u16 v115, 0x96, v114
	v_mul_lo_u16 v108, 0x96, v108
	v_and_b32_e32 v112, 0xffff, v112
	v_mul_u32_u24_e32 v113, 0xda75, v113
	v_lshrrev_b32_e32 v116, 22, v111
	v_sub_nc_u16 v115, v193, v115
	v_sub_nc_u16 v108, v181, v108
	v_mul_u32_u24_e32 v141, 0xda75, v112
	v_lshrrev_b32_e32 v111, 22, v113
	v_mul_lo_u16 v116, 0x96, v116
	v_and_b32_e32 v112, 0xffff, v115
	v_and_b32_e32 v113, 0xffff, v108
	v_lshrrev_b32_e32 v108, 22, v141
	v_mul_lo_u16 v115, 0x96, v111
	v_sub_nc_u16 v116, v199, v116
	v_lshlrev_b32_e32 v145, 5, v112
	v_lshlrev_b32_e32 v153, 5, v113
	v_mul_lo_u16 v108, 0x96, v108
	v_sub_nc_u16 v149, v198, v115
	v_and_b32_e32 v115, 0xffff, v116
	s_clause 0x1
	global_load_b128 v[141:144], v145, s[8:9] offset:2256
	global_load_b128 v[145:148], v145, s[8:9] offset:2240
	v_cmp_lt_u32_e64 s1, 59, v180
	v_sub_nc_u16 v108, v197, v108
	v_and_b32_e32 v116, 0xffff, v149
	v_lshlrev_b32_e32 v161, 5, v115
	s_clause 0x3
	global_load_b128 v[149:152], v153, s[8:9] offset:2240
	global_load_b128 v[153:156], v153, s[8:9] offset:2256
	;; [unrolled: 1-line block ×4, first 2 shown]
	v_and_b32_e32 v108, 0xffff, v108
	v_lshlrev_b32_e32 v169, 5, v116
	s_wait_alu 0xf1ff
	v_cndmask_b32_e64 v179, 0, 0x1c20, s1
	v_lshlrev_b32_e32 v110, 4, v110
	v_mul_u32_u24_e32 v114, 0x1c20, v114
	v_lshlrev_b32_e32 v177, 5, v108
	s_clause 0x3
	global_load_b128 v[165:168], v169, s[8:9] offset:2240
	global_load_b128 v[169:172], v169, s[8:9] offset:2256
	;; [unrolled: 1-line block ×4, first 2 shown]
	v_mul_u32_u24_e32 v111, 0x1c20, v111
	v_lshlrev_b32_e32 v112, 4, v112
	v_lshlrev_b32_e32 v116, 4, v116
	v_add3_u32 v110, 0, v179, v110
	v_lshl_add_u32 v113, v113, 4, 0
	v_lshl_add_u32 v115, v115, 4, 0
	;; [unrolled: 1-line block ×3, first 2 shown]
	global_wb scope:SCOPE_SE
	s_wait_loadcnt_dscnt 0x0
	s_barrier_signal -1
	s_barrier_wait -1
	global_inv scope:SCOPE_SE
	v_add3_u32 v112, 0, v114, v112
	v_add3_u32 v111, 0, v111, v116
	v_mul_f64_e32 v[190:191], v[106:107], v[119:120]
	v_mul_f64_e32 v[177:178], v[102:103], v[123:124]
	v_mul_f64_e32 v[123:124], v[100:101], v[123:124]
	v_mul_f64_e32 v[119:120], v[104:105], v[119:120]
	v_mul_f64_e32 v[203:204], v[50:51], v[127:128]
	v_mul_f64_e32 v[201:202], v[46:47], v[131:132]
	v_mul_f64_e32 v[131:132], v[44:45], v[131:132]
	v_mul_f64_e32 v[127:128], v[48:49], v[127:128]
	v_mul_f64_e32 v[199:200], v[98:99], v[135:136]
	v_mul_f64_e32 v[197:198], v[94:95], v[139:140]
	v_mul_f64_e32 v[139:140], v[92:93], v[139:140]
	v_mul_f64_e32 v[135:136], v[96:97], v[135:136]
	v_fma_f64 v[104:105], v[104:105], v[117:118], v[190:191]
	v_fma_f64 v[100:101], v[100:101], v[121:122], v[177:178]
	v_fma_f64 v[102:103], v[102:103], v[121:122], -v[123:124]
	v_fma_f64 v[106:107], v[106:107], v[117:118], -v[119:120]
	v_mul_f64_e32 v[207:208], v[82:83], v[143:144]
	v_mul_f64_e32 v[205:206], v[78:79], v[147:148]
	;; [unrolled: 1-line block ×12, first 2 shown]
	v_fma_f64 v[92:93], v[92:93], v[137:138], v[197:198]
	v_fma_f64 v[94:95], v[94:95], v[137:138], -v[139:140]
	v_fma_f64 v[96:97], v[96:97], v[133:134], v[199:200]
	v_mul_f64_e32 v[217:218], v[62:63], v[167:168]
	v_mul_f64_e32 v[167:168], v[60:61], v[167:168]
	;; [unrolled: 1-line block ×8, first 2 shown]
	v_fma_f64 v[98:99], v[98:99], v[133:134], -v[135:136]
	v_fma_f64 v[44:45], v[44:45], v[129:130], v[201:202]
	v_fma_f64 v[46:47], v[46:47], v[129:130], -v[131:132]
	v_fma_f64 v[48:49], v[48:49], v[125:126], v[203:204]
	v_fma_f64 v[50:51], v[50:51], v[125:126], -v[127:128]
	v_add_f64_e32 v[119:120], v[100:101], v[104:105]
	v_add_f64_e32 v[123:124], v[42:43], v[102:103]
	v_add_f64_e64 v[121:122], v[102:103], -v[106:107]
	v_fma_f64 v[80:81], v[80:81], v[141:142], v[207:208]
	v_fma_f64 v[76:77], v[76:77], v[145:146], v[205:206]
	v_fma_f64 v[78:79], v[78:79], v[145:146], -v[147:148]
	v_fma_f64 v[82:83], v[82:83], v[141:142], -v[143:144]
	v_add_f64_e32 v[102:103], v[102:103], v[106:107]
	v_fma_f64 v[52:53], v[52:53], v[149:150], v[209:210]
	v_fma_f64 v[54:55], v[54:55], v[149:150], -v[151:152]
	v_fma_f64 v[56:57], v[56:57], v[153:154], v[211:212]
	v_fma_f64 v[58:59], v[58:59], v[153:154], -v[155:156]
	;; [unrolled: 2-line block ×4, first 2 shown]
	v_add_f64_e32 v[117:118], v[40:41], v[100:101]
	v_add_f64_e32 v[131:132], v[38:39], v[94:95]
	;; [unrolled: 1-line block ×3, first 2 shown]
	v_fma_f64 v[60:61], v[60:61], v[165:166], v[217:218]
	v_fma_f64 v[62:63], v[62:63], v[165:166], -v[167:168]
	v_fma_f64 v[64:65], v[64:65], v[169:170], v[219:220]
	v_fma_f64 v[66:67], v[66:67], v[169:170], -v[171:172]
	;; [unrolled: 2-line block ×4, first 2 shown]
	v_add_f64_e64 v[129:130], v[94:95], -v[98:99]
	v_add_f64_e32 v[94:95], v[94:95], v[98:99]
	v_add_f64_e32 v[125:126], v[36:37], v[92:93]
	;; [unrolled: 1-line block ×5, first 2 shown]
	v_add_f64_e64 v[145:146], v[44:45], -v[48:49]
	v_add_f64_e64 v[100:101], v[100:101], -v[104:105]
	;; [unrolled: 1-line block ×3, first 2 shown]
	v_add_f64_e32 v[46:47], v[14:15], v[46:47]
	v_add_f64_e64 v[92:93], v[92:93], -v[96:97]
	v_fma_f64 v[119:120], v[119:120], -0.5, v[40:41]
	v_add_f64_e32 v[141:142], v[76:77], v[80:81]
	v_add_f64_e32 v[147:148], v[24:25], v[76:77]
	;; [unrolled: 1-line block ×3, first 2 shown]
	v_fma_f64 v[102:103], v[102:103], -0.5, v[42:43]
	v_add_f64_e32 v[159:160], v[16:17], v[52:53]
	v_add_f64_e64 v[151:152], v[78:79], -v[82:83]
	v_add_f64_e32 v[44:45], v[52:53], v[56:57]
	v_add_f64_e32 v[149:150], v[54:55], v[58:59]
	v_add_f64_e64 v[163:164], v[54:55], -v[58:59]
	v_add_f64_e32 v[54:55], v[18:19], v[54:55]
	v_add_f64_e32 v[153:154], v[84:85], v[88:89]
	;; [unrolled: 1-line block ×3, first 2 shown]
	v_add_f64_e64 v[169:170], v[52:53], -v[56:57]
	v_add_f64_e32 v[52:53], v[28:29], v[84:85]
	v_add_f64_e64 v[188:189], v[84:85], -v[88:89]
	v_fma_f64 v[84:85], v[127:128], -0.5, v[36:37]
	v_add_f64_e32 v[175:176], v[22:23], v[62:63]
	v_add_f64_e32 v[157:158], v[60:61], v[64:65]
	;; [unrolled: 1-line block ×3, first 2 shown]
	v_add_f64_e64 v[127:128], v[62:63], -v[66:67]
	v_add_f64_e32 v[186:187], v[34:35], v[70:71]
	v_add_f64_e32 v[165:166], v[68:69], v[72:73]
	;; [unrolled: 1-line block ×4, first 2 shown]
	v_fma_f64 v[62:63], v[94:95], -0.5, v[38:39]
	v_add_f64_e32 v[78:79], v[26:27], v[78:79]
	v_fma_f64 v[94:95], v[133:134], -0.5, v[12:13]
	v_add_f64_e64 v[133:134], v[70:71], -v[74:75]
	v_fma_f64 v[70:71], v[137:138], -0.5, v[14:15]
	v_add_f64_e64 v[76:77], v[76:77], -v[80:81]
	v_add_f64_e32 v[12:13], v[117:118], v[104:105]
	v_add_f64_e32 v[177:178], v[32:33], v[68:69]
	;; [unrolled: 1-line block ×4, first 2 shown]
	v_add_f64_e64 v[86:87], v[86:87], -v[90:91]
	v_add_f64_e64 v[190:191], v[60:61], -v[64:65]
	;; [unrolled: 1-line block ×3, first 2 shown]
	v_fma_f64 v[141:142], v[141:142], -0.5, v[24:25]
	v_add_f64_e32 v[24:25], v[135:136], v[48:49]
	v_fma_f64 v[104:105], v[143:144], -0.5, v[26:27]
	v_add_f64_e32 v[26:27], v[46:47], v[50:51]
	s_wait_alu 0xfffe
	v_fma_f64 v[46:47], v[100:101], s[10:11], v[102:103]
	v_fma_f64 v[48:49], v[121:122], s[10:11], v[119:120]
	v_fma_f64 v[106:107], v[44:45], -0.5, v[16:17]
	v_add_f64_e32 v[16:17], v[125:126], v[96:97]
	v_fma_f64 v[96:97], v[149:150], -0.5, v[18:19]
	v_add_f64_e32 v[18:19], v[131:132], v[98:99]
	v_fma_f64 v[98:99], v[153:154], -0.5, v[28:29]
	v_fma_f64 v[117:118], v[155:156], -0.5, v[30:31]
	v_fma_f64 v[44:45], v[121:122], s[4:5], v[119:120]
	v_fma_f64 v[50:51], v[100:101], s[4:5], v[102:103]
	v_add_f64_e32 v[30:31], v[54:55], v[58:59]
	v_add_f64_e32 v[28:29], v[159:160], v[56:57]
	;; [unrolled: 1-line block ×3, first 2 shown]
	v_fma_f64 v[123:124], v[157:158], -0.5, v[20:21]
	v_fma_f64 v[125:126], v[161:162], -0.5, v[22:23]
	v_fma_f64 v[56:57], v[129:130], s[10:11], v[84:85]
	v_add_f64_e32 v[20:21], v[147:148], v[80:81]
	v_fma_f64 v[131:132], v[165:166], -0.5, v[32:33]
	v_fma_f64 v[135:136], v[167:168], -0.5, v[34:35]
	v_add_f64_e32 v[36:37], v[173:174], v[64:65]
	v_fma_f64 v[54:55], v[92:93], s[10:11], v[62:63]
	v_fma_f64 v[58:59], v[92:93], s[4:5], v[62:63]
	;; [unrolled: 1-line block ×6, first 2 shown]
	v_add_f64_e32 v[32:33], v[52:53], v[88:89]
	v_fma_f64 v[52:53], v[129:130], s[4:5], v[84:85]
	v_add_f64_e32 v[22:23], v[78:79], v[82:83]
	v_add_f64_e32 v[40:41], v[177:178], v[72:73]
	;; [unrolled: 1-line block ×4, first 2 shown]
	v_fma_f64 v[68:69], v[151:152], s[4:5], v[141:142]
	v_fma_f64 v[72:73], v[151:152], s[10:11], v[141:142]
	;; [unrolled: 1-line block ×20, first 2 shown]
	ds_store_b128 v192, v[12:15]
	ds_store_b128 v192, v[44:47] offset:2400
	ds_store_b128 v192, v[48:51] offset:4800
	ds_store_b128 v110, v[24:27]
	ds_store_b128 v110, v[60:63] offset:2400
	ds_store_b128 v110, v[64:67] offset:4800
	;; [unrolled: 1-line block ×5, first 2 shown]
	ds_store_b128 v112, v[20:23]
	ds_store_b128 v112, v[68:71] offset:2400
	ds_store_b128 v112, v[72:75] offset:4800
	;; [unrolled: 1-line block ×8, first 2 shown]
	ds_store_b128 v111, v[36:39]
	ds_store_b128 v111, v[92:95] offset:2400
	ds_store_b128 v111, v[96:99] offset:4800
	;; [unrolled: 1-line block ×5, first 2 shown]
	s_and_saveexec_b32 s1, s0
	s_cbranch_execz .LBB0_31
; %bb.30:
	v_lshrrev_b16 v12, 1, v196
	s_delay_alu instid0(VALU_DEP_1) | instskip(NEXT) | instid1(VALU_DEP_1)
	v_and_b32_e32 v12, 0xffff, v12
	v_mul_u32_u24_e32 v12, 0xda75, v12
	s_delay_alu instid0(VALU_DEP_1) | instskip(NEXT) | instid1(VALU_DEP_1)
	v_lshrrev_b32_e32 v12, 22, v12
	v_mul_lo_u16 v12, 0x96, v12
	s_delay_alu instid0(VALU_DEP_1) | instskip(NEXT) | instid1(VALU_DEP_1)
	v_sub_nc_u16 v12, v196, v12
	v_and_b32_e32 v24, 0xffff, v12
	s_delay_alu instid0(VALU_DEP_1)
	v_lshlrev_b32_e32 v16, 5, v24
	s_clause 0x1
	global_load_b128 v[12:15], v16, s[8:9] offset:2240
	global_load_b128 v[16:19], v16, s[8:9] offset:2256
	s_wait_loadcnt 0x1
	v_mul_f64_e32 v[20:21], v[0:1], v[14:15]
	s_wait_loadcnt 0x0
	v_mul_f64_e32 v[22:23], v[4:5], v[18:19]
	v_mul_f64_e32 v[14:15], v[2:3], v[14:15]
	;; [unrolled: 1-line block ×3, first 2 shown]
	s_delay_alu instid0(VALU_DEP_4) | instskip(NEXT) | instid1(VALU_DEP_4)
	v_fma_f64 v[2:3], v[2:3], v[12:13], -v[20:21]
	v_fma_f64 v[6:7], v[6:7], v[16:17], -v[22:23]
	s_delay_alu instid0(VALU_DEP_4) | instskip(NEXT) | instid1(VALU_DEP_4)
	v_fma_f64 v[0:1], v[0:1], v[12:13], v[14:15]
	v_fma_f64 v[4:5], v[4:5], v[16:17], v[18:19]
	s_delay_alu instid0(VALU_DEP_4) | instskip(NEXT) | instid1(VALU_DEP_4)
	v_add_f64_e32 v[18:19], v[10:11], v[2:3]
	v_add_f64_e32 v[12:13], v[2:3], v[6:7]
	v_add_f64_e64 v[20:21], v[2:3], -v[6:7]
	s_delay_alu instid0(VALU_DEP_4)
	v_add_f64_e32 v[14:15], v[0:1], v[4:5]
	v_add_f64_e64 v[16:17], v[0:1], -v[4:5]
	v_add_f64_e32 v[0:1], v[8:9], v[0:1]
	v_add_f64_e32 v[2:3], v[18:19], v[6:7]
	v_fma_f64 v[10:11], v[12:13], -0.5, v[10:11]
	v_lshl_add_u32 v12, v24, 4, 0
	v_fma_f64 v[8:9], v[14:15], -0.5, v[8:9]
	v_add_f64_e32 v[0:1], v[0:1], v[4:5]
	s_delay_alu instid0(VALU_DEP_4) | instskip(SKIP_1) | instid1(VALU_DEP_4)
	v_fma_f64 v[6:7], v[16:17], s[10:11], v[10:11]
	v_fma_f64 v[10:11], v[16:17], s[4:5], v[10:11]
	;; [unrolled: 1-line block ×4, first 2 shown]
	ds_store_b128 v12, v[4:7] offset:31200
	ds_store_b128 v12, v[0:3] offset:28800
	;; [unrolled: 1-line block ×3, first 2 shown]
.LBB0_31:
	s_wait_alu 0xfffe
	s_or_b32 exec_lo, exec_lo, s1
	v_lshlrev_b32_e32 v108, 2, v180
	global_wb scope:SCOPE_SE
	s_wait_dscnt 0x0
	s_barrier_signal -1
	s_barrier_wait -1
	global_inv scope:SCOPE_SE
	v_lshlrev_b64_e32 v[0:1], 4, v[108:109]
	v_lshlrev_b32_e32 v108, 2, v195
	s_mov_b32 s13, 0x3fee6f0e
	s_mov_b32 s11, 0x3fe2cf23
	;; [unrolled: 1-line block ×4, first 2 shown]
	v_add_co_u32 v0, s0, s8, v0
	v_lshlrev_b64_e32 v[2:3], 4, v[108:109]
	s_wait_alu 0xf1ff
	v_add_co_ci_u32_e64 v1, s0, s9, v1, s0
	v_lshlrev_b32_e32 v108, 2, v194
	s_delay_alu instid0(VALU_DEP_3)
	v_add_co_u32 v2, s0, s8, v2
	global_load_b128 v[20:23], v[0:1], off offset:7040
	s_wait_alu 0xf1ff
	v_add_co_ci_u32_e64 v3, s0, s9, v3, s0
	s_clause 0x4
	global_load_b128 v[24:27], v[0:1], off offset:7056
	global_load_b128 v[30:33], v[0:1], off offset:7072
	global_load_b128 v[34:37], v[0:1], off offset:7088
	global_load_b128 v[40:43], v[2:3], off offset:7056
	global_load_b128 v[44:47], v[2:3], off offset:7040
	v_lshlrev_b64_e32 v[4:5], 4, v[108:109]
	v_lshlrev_b32_e32 v108, 2, v193
	s_delay_alu instid0(VALU_DEP_2) | instskip(SKIP_1) | instid1(VALU_DEP_3)
	v_add_co_u32 v0, s0, s8, v4
	s_wait_alu 0xf1ff
	v_add_co_ci_u32_e64 v1, s0, s9, v5, s0
	s_delay_alu instid0(VALU_DEP_3)
	v_lshlrev_b64_e32 v[4:5], 4, v[108:109]
	v_lshlrev_b32_e32 v108, 2, v181
	s_clause 0x3
	global_load_b128 v[48:51], v[2:3], off offset:7088
	global_load_b128 v[52:55], v[2:3], off offset:7072
	;; [unrolled: 1-line block ×4, first 2 shown]
	v_add_co_u32 v2, s0, s8, v4
	s_wait_alu 0xf1ff
	v_add_co_ci_u32_e64 v3, s0, s9, v5, s0
	v_lshlrev_b64_e32 v[4:5], 4, v[108:109]
	s_clause 0x3
	global_load_b128 v[64:67], v[0:1], off offset:7072
	global_load_b128 v[68:71], v[0:1], off offset:7088
	;; [unrolled: 1-line block ×4, first 2 shown]
	v_add_co_u32 v0, s0, s8, v4
	s_wait_alu 0xf1ff
	v_add_co_ci_u32_e64 v1, s0, s9, v5, s0
	s_clause 0x5
	global_load_b128 v[80:83], v[2:3], off offset:7072
	global_load_b128 v[84:87], v[2:3], off offset:7088
	;; [unrolled: 1-line block ×6, first 2 shown]
	ds_load_b128 v[104:107], v192 offset:7200
	ds_load_b128 v[108:111], v192 offset:21600
	ds_load_b128 v[16:19], v192
	ds_load_b128 v[12:15], v192 offset:1440
	ds_load_b128 v[112:115], v192 offset:14400
	;; [unrolled: 1-line block ×22, first 2 shown]
	s_mov_b32 s8, 0x134454ff
	s_mov_b32 s9, 0xbfee6f0e
	s_wait_alu 0xfffe
	s_mov_b32 s12, s8
	s_mov_b32 s0, 0x4755a5e
	;; [unrolled: 1-line block ×3, first 2 shown]
	s_wait_alu 0xfffe
	s_mov_b32 s10, s0
	global_wb scope:SCOPE_SE
	s_wait_loadcnt_dscnt 0x0
	s_barrier_signal -1
	s_barrier_wait -1
	global_inv scope:SCOPE_SE
	v_mul_f64_e32 v[38:39], v[114:115], v[26:27]
	v_mul_f64_e32 v[28:29], v[106:107], v[22:23]
	;; [unrolled: 1-line block ×36, first 2 shown]
	v_fma_f64 v[104:105], v[104:105], v[20:21], v[28:29]
	v_fma_f64 v[106:107], v[106:107], v[20:21], -v[22:23]
	v_mul_f64_e32 v[20:21], v[166:167], v[94:95]
	v_mul_f64_e32 v[94:95], v[164:165], v[94:95]
	v_fma_f64 v[112:113], v[112:113], v[24:25], v[38:39]
	v_fma_f64 v[114:115], v[114:115], v[24:25], -v[26:27]
	v_mul_f64_e32 v[26:27], v[188:189], v[102:103]
	v_mul_f64_e32 v[102:103], v[186:187], v[102:103]
	v_fma_f64 v[108:109], v[108:109], v[30:31], v[190:191]
	v_fma_f64 v[28:29], v[122:123], v[34:35], -v[36:37]
	v_fma_f64 v[110:111], v[110:111], v[30:31], -v[32:33]
	v_fma_f64 v[38:39], v[120:121], v[34:35], v[193:194]
	v_fma_f64 v[120:121], v[128:129], v[44:45], v[195:196]
	v_fma_f64 v[44:45], v[130:131], v[44:45], -v[46:47]
	v_fma_f64 v[46:47], v[116:117], v[40:41], v[197:198]
	v_fma_f64 v[40:41], v[118:119], v[40:41], -v[42:43]
	v_fma_f64 v[42:43], v[136:137], v[52:53], v[199:200]
	v_fma_f64 v[52:53], v[138:139], v[52:53], -v[54:55]
	v_fma_f64 v[36:37], v[124:125], v[48:49], v[201:202]
	v_fma_f64 v[30:31], v[126:127], v[48:49], -v[50:51]
	v_fma_f64 v[48:49], v[132:133], v[56:57], v[203:204]
	v_fma_f64 v[50:51], v[134:135], v[56:57], -v[58:59]
	v_fma_f64 v[54:55], v[148:149], v[60:61], v[205:206]
	v_fma_f64 v[56:57], v[150:151], v[60:61], -v[62:63]
	v_fma_f64 v[58:59], v[140:141], v[64:65], v[207:208]
	v_fma_f64 v[60:61], v[142:143], v[64:65], -v[66:67]
	v_fma_f64 v[34:35], v[144:145], v[68:69], v[209:210]
	v_fma_f64 v[24:25], v[146:147], v[68:69], -v[70:71]
	v_fma_f64 v[62:63], v[156:157], v[72:73], v[211:212]
	v_fma_f64 v[64:65], v[158:159], v[72:73], -v[74:75]
	v_fma_f64 v[66:67], v[152:153], v[76:77], v[213:214]
	v_fma_f64 v[68:69], v[154:155], v[76:77], -v[78:79]
	v_fma_f64 v[70:71], v[168:169], v[80:81], v[215:216]
	v_fma_f64 v[72:73], v[170:171], v[80:81], -v[82:83]
	v_fma_f64 v[32:33], v[176:177], v[84:85], v[217:218]
	v_fma_f64 v[22:23], v[178:179], v[84:85], -v[86:87]
	v_fma_f64 v[74:75], v[160:161], v[88:89], v[219:220]
	v_fma_f64 v[76:77], v[162:163], v[88:89], -v[90:91]
	v_fma_f64 v[82:83], v[172:173], v[96:97], v[221:222]
	v_fma_f64 v[84:85], v[174:175], v[96:97], -v[98:99]
	v_fma_f64 v[78:79], v[164:165], v[92:93], v[20:21]
	v_fma_f64 v[80:81], v[166:167], v[92:93], -v[94:95]
	v_add_f64_e32 v[86:87], v[16:17], v[104:105]
	v_add_f64_e32 v[116:117], v[18:19], v[106:107]
	v_fma_f64 v[26:27], v[186:187], v[100:101], v[26:27]
	v_fma_f64 v[20:21], v[188:189], v[100:101], -v[102:103]
	v_add_f64_e32 v[88:89], v[112:113], v[108:109]
	v_add_f64_e32 v[128:129], v[106:107], v[28:29]
	;; [unrolled: 1-line block ×4, first 2 shown]
	v_add_f64_e64 v[94:95], v[104:105], -v[112:113]
	v_add_f64_e64 v[96:97], v[38:39], -v[108:109]
	;; [unrolled: 1-line block ×7, first 2 shown]
	v_add_f64_e32 v[132:133], v[12:13], v[120:121]
	v_add_f64_e32 v[134:135], v[46:47], v[42:43]
	v_add_f64_e32 v[144:145], v[120:121], v[36:37]
	v_add_f64_e32 v[152:153], v[40:41], v[52:53]
	v_add_f64_e32 v[160:161], v[44:45], v[30:31]
	v_add_f64_e32 v[150:151], v[14:15], v[44:45]
	v_add_f64_e64 v[136:137], v[44:45], -v[30:31]
	v_add_f64_e64 v[140:141], v[120:121], -v[46:47]
	;; [unrolled: 1-line block ×8, first 2 shown]
	v_add_f64_e32 v[164:165], v[8:9], v[48:49]
	v_add_f64_e32 v[166:167], v[54:55], v[58:59]
	;; [unrolled: 1-line block ×6, first 2 shown]
	v_add_f64_e64 v[168:169], v[50:51], -v[24:25]
	v_add_f64_e64 v[195:196], v[50:51], -v[56:57]
	;; [unrolled: 1-line block ×4, first 2 shown]
	v_add_f64_e32 v[203:204], v[4:5], v[62:63]
	v_add_f64_e32 v[205:206], v[66:67], v[70:71]
	;; [unrolled: 1-line block ×6, first 2 shown]
	v_add_f64_e64 v[100:101], v[112:113], -v[104:105]
	v_add_f64_e64 v[102:103], v[108:109], -v[38:39]
	;; [unrolled: 1-line block ×8, first 2 shown]
	v_add_f64_e32 v[235:236], v[0:1], v[74:75]
	v_add_f64_e32 v[237:238], v[78:79], v[82:83]
	;; [unrolled: 1-line block ×5, first 2 shown]
	v_fma_f64 v[88:89], v[88:89], -0.5, v[16:17]
	v_fma_f64 v[16:17], v[98:99], -0.5, v[16:17]
	;; [unrolled: 1-line block ×4, first 2 shown]
	v_add_f64_e32 v[128:129], v[76:77], v[20:21]
	v_add_f64_e64 v[92:93], v[114:115], -v[110:111]
	v_add_f64_e64 v[104:105], v[104:105], -v[38:39]
	v_add_f64_e32 v[86:87], v[86:87], v[112:113]
	v_add_f64_e32 v[114:115], v[116:117], v[114:115]
	v_add_f64_e64 v[122:123], v[112:113], -v[108:109]
	v_add_f64_e64 v[112:113], v[80:81], -v[76:77]
	v_add_f64_e32 v[94:95], v[94:95], v[96:97]
	v_add_f64_e64 v[96:97], v[84:85], -v[20:21]
	v_add_f64_e64 v[138:139], v[40:41], -v[52:53]
	;; [unrolled: 1-line block ×5, first 2 shown]
	v_add_f64_e32 v[124:125], v[124:125], v[126:127]
	v_add_f64_e32 v[106:107], v[106:107], v[130:131]
	v_fma_f64 v[126:127], v[134:135], -0.5, v[12:13]
	v_fma_f64 v[12:13], v[144:145], -0.5, v[12:13]
	v_fma_f64 v[130:131], v[152:153], -0.5, v[14:15]
	v_fma_f64 v[14:15], v[160:161], -0.5, v[14:15]
	v_add_f64_e32 v[46:47], v[132:133], v[46:47]
	v_add_f64_e64 v[120:121], v[120:121], -v[36:37]
	v_add_f64_e32 v[40:41], v[150:151], v[40:41]
	v_add_f64_e64 v[170:171], v[56:57], -v[60:61]
	v_add_f64_e64 v[48:49], v[48:49], -v[34:35]
	;; [unrolled: 1-line block ×3, first 2 shown]
	v_add_f64_e32 v[132:133], v[140:141], v[142:143]
	v_add_f64_e32 v[134:135], v[146:147], v[148:149]
	;; [unrolled: 1-line block ×4, first 2 shown]
	v_fma_f64 v[54:55], v[166:167], -0.5, v[8:9]
	v_add_f64_e32 v[56:57], v[188:189], v[56:57]
	v_fma_f64 v[148:149], v[190:191], -0.5, v[10:11]
	v_add_f64_e64 v[197:198], v[24:25], -v[60:61]
	v_fma_f64 v[8:9], v[176:177], -0.5, v[8:9]
	v_fma_f64 v[10:11], v[199:200], -0.5, v[10:11]
	v_add_f64_e64 v[209:210], v[68:69], -v[72:73]
	v_add_f64_e64 v[211:212], v[62:63], -v[66:67]
	v_add_f64_e64 v[217:218], v[66:67], -v[62:63]
	v_add_f64_e64 v[225:226], v[66:67], -v[70:71]
	v_add_f64_e32 v[152:153], v[50:51], v[201:202]
	v_add_f64_e32 v[50:51], v[203:204], v[66:67]
	v_fma_f64 v[66:67], v[205:206], -0.5, v[4:5]
	v_fma_f64 v[4:5], v[215:216], -0.5, v[4:5]
	;; [unrolled: 1-line block ×4, first 2 shown]
	v_add_f64_e64 v[62:63], v[62:63], -v[32:33]
	v_add_f64_e32 v[68:69], v[221:222], v[68:69]
	v_add_f64_e64 v[239:240], v[74:75], -v[78:79]
	v_add_f64_e64 v[245:246], v[78:79], -v[74:75]
	;; [unrolled: 1-line block ×4, first 2 shown]
	v_add_f64_e32 v[100:101], v[100:101], v[102:103]
	v_add_f64_e64 v[102:103], v[80:81], -v[84:85]
	v_add_f64_e64 v[74:75], v[74:75], -v[26:27]
	;; [unrolled: 1-line block ×3, first 2 shown]
	v_add_f64_e32 v[144:145], v[172:173], v[174:175]
	v_add_f64_e32 v[164:165], v[64:65], v[233:234]
	;; [unrolled: 1-line block ×3, first 2 shown]
	v_fma_f64 v[78:79], v[237:238], -0.5, v[0:1]
	v_add_f64_e32 v[80:81], v[249:250], v[80:81]
	v_fma_f64 v[174:175], v[251:252], -0.5, v[2:3]
	v_add_f64_e64 v[158:159], v[30:31], -v[52:53]
	v_add_f64_e64 v[213:214], v[32:33], -v[70:71]
	v_fma_f64 v[0:1], v[243:244], -0.5, v[0:1]
	v_fma_f64 v[2:3], v[128:129], -0.5, v[2:3]
	v_add_f64_e32 v[86:87], v[86:87], v[108:109]
	v_fma_f64 v[108:109], v[90:91], s[8:9], v[88:89]
	v_fma_f64 v[88:89], v[90:91], s[12:13], v[88:89]
	v_add_f64_e32 v[110:111], v[114:115], v[110:111]
	v_fma_f64 v[114:115], v[104:105], s[12:13], v[98:99]
	v_add_f64_e32 v[96:97], v[112:113], v[96:97]
	v_fma_f64 v[112:113], v[92:93], s[12:13], v[16:17]
	v_fma_f64 v[128:129], v[122:123], s[8:9], v[18:19]
	v_add_f64_e32 v[146:147], v[178:179], v[186:187]
	v_add_f64_e32 v[42:43], v[46:47], v[42:43]
	v_fma_f64 v[46:47], v[136:137], s[8:9], v[126:127]
	v_fma_f64 v[176:177], v[138:139], s[12:13], v[12:13]
	;; [unrolled: 1-line block ×5, first 2 shown]
	v_add_f64_e32 v[40:41], v[40:41], v[52:53]
	v_fma_f64 v[52:53], v[120:121], s[12:13], v[130:131]
	v_fma_f64 v[130:131], v[120:121], s[8:9], v[130:131]
	v_add_f64_e32 v[44:45], v[44:45], v[58:59]
	v_fma_f64 v[58:59], v[168:169], s[8:9], v[54:55]
	v_fma_f64 v[54:55], v[168:169], s[12:13], v[54:55]
	;; [unrolled: 3-line block ×3, first 2 shown]
	v_fma_f64 v[14:15], v[154:155], s[12:13], v[14:15]
	v_add_f64_e32 v[150:151], v[195:196], v[197:198]
	v_fma_f64 v[188:189], v[170:171], s[8:9], v[8:9]
	v_fma_f64 v[195:196], v[193:194], s[12:13], v[10:11]
	v_fma_f64 v[148:149], v[48:49], s[8:9], v[148:149]
	v_fma_f64 v[186:187], v[170:171], s[12:13], v[8:9]
	v_fma_f64 v[190:191], v[193:194], s[8:9], v[10:11]
	v_add_f64_e64 v[219:220], v[70:71], -v[32:33]
	v_fma_f64 v[197:198], v[209:210], s[12:13], v[4:5]
	v_fma_f64 v[201:202], v[225:226], s[8:9], v[6:7]
	v_add_f64_e64 v[229:230], v[22:23], -v[72:73]
	v_add_f64_e32 v[50:51], v[50:51], v[70:71]
	v_fma_f64 v[70:71], v[207:208], s[8:9], v[66:67]
	v_add_f64_e32 v[68:69], v[68:69], v[72:73]
	v_fma_f64 v[72:73], v[62:63], s[12:13], v[160:161]
	v_add_f64_e64 v[241:242], v[26:27], -v[82:83]
	v_add_f64_e64 v[247:248], v[82:83], -v[26:27]
	v_add_f64_e64 v[118:119], v[20:21], -v[84:85]
	v_add_f64_e32 v[64:65], v[64:65], v[82:83]
	v_fma_f64 v[82:83], v[76:77], s[8:9], v[78:79]
	v_add_f64_e32 v[80:81], v[80:81], v[84:85]
	v_fma_f64 v[84:85], v[74:75], s[12:13], v[174:175]
	v_fma_f64 v[16:17], v[92:93], s[8:9], v[16:17]
	;; [unrolled: 1-line block ×3, first 2 shown]
	v_add_f64_e32 v[140:141], v[156:157], v[158:159]
	v_add_f64_e32 v[156:157], v[211:212], v[213:214]
	v_fma_f64 v[205:206], v[102:103], s[12:13], v[0:1]
	v_fma_f64 v[213:214], v[116:117], s[8:9], v[2:3]
	;; [unrolled: 1-line block ×10, first 2 shown]
	v_add_f64_e32 v[0:1], v[86:87], v[38:39]
	v_fma_f64 v[38:39], v[92:93], s[0:1], v[108:109]
	s_wait_alu 0xfffe
	v_fma_f64 v[86:87], v[92:93], s[10:11], v[88:89]
	v_fma_f64 v[92:93], v[122:123], s[10:11], v[114:115]
	;; [unrolled: 1-line block ×4, first 2 shown]
	v_add_f64_e32 v[4:5], v[42:43], v[36:37]
	v_fma_f64 v[36:37], v[138:139], s[0:1], v[46:47]
	v_fma_f64 v[46:47], v[136:137], s[0:1], v[176:177]
	;; [unrolled: 1-line block ×10, first 2 shown]
	v_add_f64_e32 v[2:3], v[110:111], v[28:29]
	v_fma_f64 v[110:111], v[136:137], s[10:11], v[12:13]
	v_fma_f64 v[120:121], v[120:121], s[0:1], v[14:15]
	;; [unrolled: 1-line block ×7, first 2 shown]
	v_add_f64_e32 v[158:159], v[217:218], v[219:220]
	v_fma_f64 v[154:155], v[207:208], s[0:1], v[197:198]
	v_fma_f64 v[176:177], v[62:63], s[10:11], v[201:202]
	v_add_f64_e32 v[162:163], v[227:228], v[229:230]
	v_fma_f64 v[70:71], v[209:210], s[0:1], v[70:71]
	v_fma_f64 v[170:171], v[225:226], s[10:11], v[72:73]
	v_add_f64_e32 v[166:167], v[239:240], v[241:242]
	v_add_f64_e32 v[118:119], v[253:254], v[118:119]
	v_fma_f64 v[186:187], v[102:103], s[0:1], v[82:83]
	v_fma_f64 v[193:194], v[116:117], s[10:11], v[84:85]
	;; [unrolled: 1-line block ×4, first 2 shown]
	v_add_f64_e32 v[172:173], v[245:246], v[247:248]
	v_fma_f64 v[188:189], v[76:77], s[0:1], v[205:206]
	v_fma_f64 v[195:196], v[74:75], s[10:11], v[213:214]
	;; [unrolled: 1-line block ×10, first 2 shown]
	v_add_f64_e32 v[6:7], v[40:41], v[30:31]
	v_add_f64_e32 v[8:9], v[44:45], v[34:35]
	;; [unrolled: 1-line block ×6, first 2 shown]
	v_fma_f64 v[20:21], v[94:95], s[4:5], v[38:39]
	v_fma_f64 v[22:23], v[124:125], s[4:5], v[92:93]
	v_add_f64_e32 v[16:17], v[64:65], v[26:27]
	v_fma_f64 v[28:29], v[100:101], s[4:5], v[88:89]
	v_fma_f64 v[30:31], v[106:107], s[4:5], v[108:109]
	;; [unrolled: 1-line block ×38, first 2 shown]
	ds_store_b128 v192, v[0:3]
	ds_store_b128 v192, v[4:7] offset:1440
	ds_store_b128 v192, v[8:11] offset:2880
	;; [unrolled: 1-line block ×24, first 2 shown]
	global_wb scope:SCOPE_SE
	s_wait_dscnt 0x0
	s_barrier_signal -1
	s_barrier_wait -1
	global_inv scope:SCOPE_SE
	s_and_saveexec_b32 s0, vcc_lo
	s_cbranch_execz .LBB0_33
; %bb.32:
	v_mul_lo_u32 v2, s3, v184
	v_mul_lo_u32 v3, s2, v185
	v_mad_co_u64_u32 v[0:1], null, s2, v184, 0
	v_dual_mov_b32 v181, 0 :: v_dual_add_nc_u32 v10, 0x5a, v180
	v_lshlrev_b64_e32 v[8:9], 4, v[182:183]
	v_lshl_add_u32 v28, v180, 4, 0
	s_delay_alu instid0(VALU_DEP_3) | instskip(SKIP_4) | instid1(VALU_DEP_4)
	v_dual_mov_b32 v11, v181 :: v_dual_add_nc_u32 v12, 0xb4, v180
	v_add3_u32 v1, v1, v3, v2
	v_lshlrev_b64_e32 v[14:15], 4, v[180:181]
	v_dual_mov_b32 v13, v181 :: v_dual_add_nc_u32 v22, 0x10e, v180
	v_dual_mov_b32 v23, v181 :: v_dual_add_nc_u32 v24, 0x168, v180
	v_lshlrev_b64_e32 v[16:17], 4, v[0:1]
	ds_load_b128 v[0:3], v28
	ds_load_b128 v[4:7], v28 offset:1440
	v_mov_b32_e32 v25, v181
	v_lshlrev_b64_e32 v[22:23], 4, v[22:23]
	v_add_co_u32 v18, vcc_lo, s6, v16
	s_wait_alu 0xfffd
	v_add_co_ci_u32_e32 v19, vcc_lo, s7, v17, vcc_lo
	v_lshlrev_b64_e32 v[16:17], 4, v[10:11]
	s_delay_alu instid0(VALU_DEP_3) | instskip(SKIP_1) | instid1(VALU_DEP_3)
	v_add_co_u32 v30, vcc_lo, v18, v8
	s_wait_alu 0xfffd
	v_add_co_ci_u32_e32 v31, vcc_lo, v19, v9, vcc_lo
	v_lshlrev_b64_e32 v[18:19], 4, v[12:13]
	s_delay_alu instid0(VALU_DEP_3) | instskip(SKIP_1) | instid1(VALU_DEP_3)
	v_add_co_u32 v20, vcc_lo, v30, v14
	s_wait_alu 0xfffd
	v_add_co_ci_u32_e32 v21, vcc_lo, v31, v15, vcc_lo
	ds_load_b128 v[8:11], v28 offset:2880
	ds_load_b128 v[12:15], v28 offset:4320
	v_add_co_u32 v16, vcc_lo, v30, v16
	s_wait_alu 0xfffd
	v_add_co_ci_u32_e32 v17, vcc_lo, v31, v17, vcc_lo
	v_add_co_u32 v18, vcc_lo, v30, v18
	s_wait_alu 0xfffd
	v_add_co_ci_u32_e32 v19, vcc_lo, v31, v19, vcc_lo
	;; [unrolled: 3-line block ×3, first 2 shown]
	s_wait_dscnt 0x3
	global_store_b128 v[20:21], v[0:3], off
	s_wait_dscnt 0x2
	global_store_b128 v[16:17], v[4:7], off
	;; [unrolled: 2-line block ×4, first 2 shown]
	v_add_nc_u32_e32 v8, 0x1c2, v180
	v_lshlrev_b64_e32 v[0:1], 4, v[24:25]
	v_dual_mov_b32 v9, v181 :: v_dual_add_nc_u32 v10, 0x21c, v180
	v_dual_mov_b32 v11, v181 :: v_dual_add_nc_u32 v22, 0x276, v180
	;; [unrolled: 1-line block ×3, first 2 shown]
	s_delay_alu instid0(VALU_DEP_4)
	v_add_co_u32 v16, vcc_lo, v30, v0
	s_wait_alu 0xfffd
	v_add_co_ci_u32_e32 v17, vcc_lo, v31, v1, vcc_lo
	ds_load_b128 v[0:3], v28 offset:5760
	ds_load_b128 v[4:7], v28 offset:7200
	v_lshlrev_b64_e32 v[18:19], 4, v[8:9]
	v_lshlrev_b64_e32 v[20:21], 4, v[10:11]
	ds_load_b128 v[8:11], v28 offset:8640
	ds_load_b128 v[12:15], v28 offset:10080
	v_lshlrev_b64_e32 v[22:23], 4, v[22:23]
	v_add_co_u32 v18, vcc_lo, v30, v18
	s_wait_alu 0xfffd
	v_add_co_ci_u32_e32 v19, vcc_lo, v31, v19, vcc_lo
	v_add_co_u32 v20, vcc_lo, v30, v20
	s_wait_alu 0xfffd
	v_add_co_ci_u32_e32 v21, vcc_lo, v31, v21, vcc_lo
	;; [unrolled: 3-line block ×3, first 2 shown]
	s_wait_dscnt 0x3
	global_store_b128 v[16:17], v[0:3], off
	s_wait_dscnt 0x2
	global_store_b128 v[18:19], v[4:7], off
	;; [unrolled: 2-line block ×4, first 2 shown]
	v_lshlrev_b64_e32 v[0:1], 4, v[24:25]
	v_dual_mov_b32 v9, v181 :: v_dual_add_nc_u32 v8, 0x32a, v180
	v_dual_mov_b32 v11, v181 :: v_dual_add_nc_u32 v10, 0x384, v180
	;; [unrolled: 1-line block ×3, first 2 shown]
	s_delay_alu instid0(VALU_DEP_4)
	v_add_co_u32 v16, vcc_lo, v30, v0
	s_wait_alu 0xfffd
	v_add_co_ci_u32_e32 v17, vcc_lo, v31, v1, vcc_lo
	ds_load_b128 v[0:3], v28 offset:11520
	ds_load_b128 v[4:7], v28 offset:12960
	v_lshlrev_b64_e32 v[18:19], 4, v[8:9]
	v_lshlrev_b64_e32 v[20:21], 4, v[10:11]
	ds_load_b128 v[8:11], v28 offset:14400
	ds_load_b128 v[12:15], v28 offset:15840
	v_lshlrev_b64_e32 v[22:23], 4, v[22:23]
	v_add_nc_u32_e32 v24, 0x438, v180
	v_add_co_u32 v18, vcc_lo, v30, v18
	s_wait_alu 0xfffd
	v_add_co_ci_u32_e32 v19, vcc_lo, v31, v19, vcc_lo
	v_add_co_u32 v20, vcc_lo, v30, v20
	s_wait_alu 0xfffd
	v_add_co_ci_u32_e32 v21, vcc_lo, v31, v21, vcc_lo
	;; [unrolled: 3-line block ×3, first 2 shown]
	s_wait_dscnt 0x3
	global_store_b128 v[16:17], v[0:3], off
	s_wait_dscnt 0x2
	global_store_b128 v[18:19], v[4:7], off
	;; [unrolled: 2-line block ×4, first 2 shown]
	v_mov_b32_e32 v9, v181
	v_lshlrev_b64_e32 v[0:1], 4, v[24:25]
	v_dual_mov_b32 v11, v181 :: v_dual_add_nc_u32 v8, 0x492, v180
	v_dual_mov_b32 v23, v181 :: v_dual_add_nc_u32 v10, 0x4ec, v180
	v_add_nc_u32_e32 v22, 0x546, v180
	s_delay_alu instid0(VALU_DEP_4)
	v_add_co_u32 v16, vcc_lo, v30, v0
	s_wait_alu 0xfffd
	v_add_co_ci_u32_e32 v17, vcc_lo, v31, v1, vcc_lo
	ds_load_b128 v[0:3], v28 offset:17280
	ds_load_b128 v[4:7], v28 offset:18720
	v_lshlrev_b64_e32 v[18:19], 4, v[8:9]
	v_lshlrev_b64_e32 v[20:21], 4, v[10:11]
	ds_load_b128 v[8:11], v28 offset:20160
	ds_load_b128 v[12:15], v28 offset:21600
	v_lshlrev_b64_e32 v[22:23], 4, v[22:23]
	v_add_nc_u32_e32 v24, 0x5a0, v180
	v_add_co_u32 v18, vcc_lo, v30, v18
	s_wait_alu 0xfffd
	v_add_co_ci_u32_e32 v19, vcc_lo, v31, v19, vcc_lo
	v_add_co_u32 v20, vcc_lo, v30, v20
	s_wait_alu 0xfffd
	v_add_co_ci_u32_e32 v21, vcc_lo, v31, v21, vcc_lo
	;; [unrolled: 3-line block ×3, first 2 shown]
	s_wait_dscnt 0x3
	global_store_b128 v[16:17], v[0:3], off
	s_wait_dscnt 0x2
	global_store_b128 v[18:19], v[4:7], off
	;; [unrolled: 2-line block ×4, first 2 shown]
	v_mov_b32_e32 v11, v181
	v_lshlrev_b64_e32 v[0:1], 4, v[24:25]
	v_dual_mov_b32 v23, v181 :: v_dual_add_nc_u32 v8, 0x5fa, v180
	v_dual_mov_b32 v9, v181 :: v_dual_add_nc_u32 v10, 0x654, v180
	v_add_nc_u32_e32 v22, 0x6ae, v180
	s_delay_alu instid0(VALU_DEP_4)
	v_add_co_u32 v16, vcc_lo, v30, v0
	s_wait_alu 0xfffd
	v_add_co_ci_u32_e32 v17, vcc_lo, v31, v1, vcc_lo
	ds_load_b128 v[0:3], v28 offset:23040
	ds_load_b128 v[4:7], v28 offset:24480
	v_lshlrev_b64_e32 v[18:19], 4, v[8:9]
	v_lshlrev_b64_e32 v[20:21], 4, v[10:11]
	ds_load_b128 v[8:11], v28 offset:25920
	ds_load_b128 v[12:15], v28 offset:27360
	v_lshlrev_b64_e32 v[22:23], 4, v[22:23]
	v_add_nc_u32_e32 v24, 0x708, v180
	v_add_co_u32 v18, vcc_lo, v30, v18
	s_wait_alu 0xfffd
	v_add_co_ci_u32_e32 v19, vcc_lo, v31, v19, vcc_lo
	v_add_co_u32 v20, vcc_lo, v30, v20
	s_wait_alu 0xfffd
	v_add_co_ci_u32_e32 v21, vcc_lo, v31, v21, vcc_lo
	v_add_co_u32 v22, vcc_lo, v30, v22
	s_wait_dscnt 0x3
	global_store_b128 v[16:17], v[0:3], off
	s_wait_dscnt 0x2
	global_store_b128 v[18:19], v[4:7], off
	v_dual_mov_b32 v3, v181 :: v_dual_add_nc_u32 v2, 0x762, v180
	s_wait_alu 0xfffd
	v_add_co_ci_u32_e32 v23, vcc_lo, v31, v23, vcc_lo
	v_lshlrev_b64_e32 v[0:1], 4, v[24:25]
	s_wait_dscnt 0x1
	global_store_b128 v[20:21], v[8:11], off
	s_wait_dscnt 0x0
	global_store_b128 v[22:23], v[12:15], off
	v_mov_b32_e32 v13, v181
	v_lshlrev_b64_e32 v[8:9], 4, v[2:3]
	v_add_nc_u32_e32 v12, 0x7bc, v180
	v_add_co_u32 v20, vcc_lo, v30, v0
	s_wait_alu 0xfffd
	v_add_co_ci_u32_e32 v21, vcc_lo, v31, v1, vcc_lo
	s_delay_alu instid0(VALU_DEP_4)
	v_add_co_u32 v22, vcc_lo, v30, v8
	ds_load_b128 v[0:3], v28 offset:28800
	ds_load_b128 v[4:7], v28 offset:30240
	s_wait_alu 0xfffd
	v_add_co_ci_u32_e32 v23, vcc_lo, v31, v9, vcc_lo
	ds_load_b128 v[8:11], v28 offset:31680
	v_lshlrev_b64_e32 v[26:27], 4, v[12:13]
	ds_load_b128 v[12:15], v28 offset:33120
	ds_load_b128 v[16:19], v28 offset:34560
	v_add_nc_u32_e32 v24, 0x816, v180
	v_add_nc_u32_e32 v180, 0x870, v180
	v_add_co_u32 v26, vcc_lo, v30, v26
	s_delay_alu instid0(VALU_DEP_3) | instskip(NEXT) | instid1(VALU_DEP_3)
	v_lshlrev_b64_e32 v[24:25], 4, v[24:25]
	v_lshlrev_b64_e32 v[28:29], 4, v[180:181]
	s_wait_alu 0xfffd
	v_add_co_ci_u32_e32 v27, vcc_lo, v31, v27, vcc_lo
	s_delay_alu instid0(VALU_DEP_3)
	v_add_co_u32 v24, vcc_lo, v30, v24
	s_wait_alu 0xfffd
	v_add_co_ci_u32_e32 v25, vcc_lo, v31, v25, vcc_lo
	v_add_co_u32 v28, vcc_lo, v30, v28
	s_wait_alu 0xfffd
	v_add_co_ci_u32_e32 v29, vcc_lo, v31, v29, vcc_lo
	s_wait_dscnt 0x4
	global_store_b128 v[20:21], v[0:3], off
	s_wait_dscnt 0x3
	global_store_b128 v[22:23], v[4:7], off
	;; [unrolled: 2-line block ×5, first 2 shown]
.LBB0_33:
	s_nop 0
	s_sendmsg sendmsg(MSG_DEALLOC_VGPRS)
	s_endpgm
	.section	.rodata,"a",@progbits
	.p2align	6, 0x0
	.amdhsa_kernel fft_rtc_back_len2250_factors_10_3_5_3_5_wgs_90_tpt_90_halfLds_dp_op_CI_CI_unitstride_sbrr_C2R_dirReg
		.amdhsa_group_segment_fixed_size 0
		.amdhsa_private_segment_fixed_size 0
		.amdhsa_kernarg_size 104
		.amdhsa_user_sgpr_count 2
		.amdhsa_user_sgpr_dispatch_ptr 0
		.amdhsa_user_sgpr_queue_ptr 0
		.amdhsa_user_sgpr_kernarg_segment_ptr 1
		.amdhsa_user_sgpr_dispatch_id 0
		.amdhsa_user_sgpr_private_segment_size 0
		.amdhsa_wavefront_size32 1
		.amdhsa_uses_dynamic_stack 0
		.amdhsa_enable_private_segment 0
		.amdhsa_system_sgpr_workgroup_id_x 1
		.amdhsa_system_sgpr_workgroup_id_y 0
		.amdhsa_system_sgpr_workgroup_id_z 0
		.amdhsa_system_sgpr_workgroup_info 0
		.amdhsa_system_vgpr_workitem_id 0
		.amdhsa_next_free_vgpr 255
		.amdhsa_next_free_sgpr 39
		.amdhsa_reserve_vcc 1
		.amdhsa_float_round_mode_32 0
		.amdhsa_float_round_mode_16_64 0
		.amdhsa_float_denorm_mode_32 3
		.amdhsa_float_denorm_mode_16_64 3
		.amdhsa_fp16_overflow 0
		.amdhsa_workgroup_processor_mode 1
		.amdhsa_memory_ordered 1
		.amdhsa_forward_progress 0
		.amdhsa_round_robin_scheduling 0
		.amdhsa_exception_fp_ieee_invalid_op 0
		.amdhsa_exception_fp_denorm_src 0
		.amdhsa_exception_fp_ieee_div_zero 0
		.amdhsa_exception_fp_ieee_overflow 0
		.amdhsa_exception_fp_ieee_underflow 0
		.amdhsa_exception_fp_ieee_inexact 0
		.amdhsa_exception_int_div_zero 0
	.end_amdhsa_kernel
	.text
.Lfunc_end0:
	.size	fft_rtc_back_len2250_factors_10_3_5_3_5_wgs_90_tpt_90_halfLds_dp_op_CI_CI_unitstride_sbrr_C2R_dirReg, .Lfunc_end0-fft_rtc_back_len2250_factors_10_3_5_3_5_wgs_90_tpt_90_halfLds_dp_op_CI_CI_unitstride_sbrr_C2R_dirReg
                                        ; -- End function
	.section	.AMDGPU.csdata,"",@progbits
; Kernel info:
; codeLenInByte = 22024
; NumSgprs: 41
; NumVgprs: 255
; ScratchSize: 0
; MemoryBound: 0
; FloatMode: 240
; IeeeMode: 1
; LDSByteSize: 0 bytes/workgroup (compile time only)
; SGPRBlocks: 5
; VGPRBlocks: 31
; NumSGPRsForWavesPerEU: 41
; NumVGPRsForWavesPerEU: 255
; Occupancy: 5
; WaveLimiterHint : 1
; COMPUTE_PGM_RSRC2:SCRATCH_EN: 0
; COMPUTE_PGM_RSRC2:USER_SGPR: 2
; COMPUTE_PGM_RSRC2:TRAP_HANDLER: 0
; COMPUTE_PGM_RSRC2:TGID_X_EN: 1
; COMPUTE_PGM_RSRC2:TGID_Y_EN: 0
; COMPUTE_PGM_RSRC2:TGID_Z_EN: 0
; COMPUTE_PGM_RSRC2:TIDIG_COMP_CNT: 0
	.text
	.p2alignl 7, 3214868480
	.fill 96, 4, 3214868480
	.type	__hip_cuid_db20378ef901a738,@object ; @__hip_cuid_db20378ef901a738
	.section	.bss,"aw",@nobits
	.globl	__hip_cuid_db20378ef901a738
__hip_cuid_db20378ef901a738:
	.byte	0                               ; 0x0
	.size	__hip_cuid_db20378ef901a738, 1

	.ident	"AMD clang version 19.0.0git (https://github.com/RadeonOpenCompute/llvm-project roc-6.4.0 25133 c7fe45cf4b819c5991fe208aaa96edf142730f1d)"
	.section	".note.GNU-stack","",@progbits
	.addrsig
	.addrsig_sym __hip_cuid_db20378ef901a738
	.amdgpu_metadata
---
amdhsa.kernels:
  - .args:
      - .actual_access:  read_only
        .address_space:  global
        .offset:         0
        .size:           8
        .value_kind:     global_buffer
      - .offset:         8
        .size:           8
        .value_kind:     by_value
      - .actual_access:  read_only
        .address_space:  global
        .offset:         16
        .size:           8
        .value_kind:     global_buffer
      - .actual_access:  read_only
        .address_space:  global
        .offset:         24
        .size:           8
        .value_kind:     global_buffer
      - .actual_access:  read_only
        .address_space:  global
        .offset:         32
        .size:           8
        .value_kind:     global_buffer
      - .offset:         40
        .size:           8
        .value_kind:     by_value
      - .actual_access:  read_only
        .address_space:  global
        .offset:         48
        .size:           8
        .value_kind:     global_buffer
      - .actual_access:  read_only
        .address_space:  global
        .offset:         56
        .size:           8
        .value_kind:     global_buffer
      - .offset:         64
        .size:           4
        .value_kind:     by_value
      - .actual_access:  read_only
        .address_space:  global
        .offset:         72
        .size:           8
        .value_kind:     global_buffer
      - .actual_access:  read_only
        .address_space:  global
        .offset:         80
        .size:           8
        .value_kind:     global_buffer
      - .actual_access:  read_only
        .address_space:  global
        .offset:         88
        .size:           8
        .value_kind:     global_buffer
      - .actual_access:  write_only
        .address_space:  global
        .offset:         96
        .size:           8
        .value_kind:     global_buffer
    .group_segment_fixed_size: 0
    .kernarg_segment_align: 8
    .kernarg_segment_size: 104
    .language:       OpenCL C
    .language_version:
      - 2
      - 0
    .max_flat_workgroup_size: 90
    .name:           fft_rtc_back_len2250_factors_10_3_5_3_5_wgs_90_tpt_90_halfLds_dp_op_CI_CI_unitstride_sbrr_C2R_dirReg
    .private_segment_fixed_size: 0
    .sgpr_count:     41
    .sgpr_spill_count: 0
    .symbol:         fft_rtc_back_len2250_factors_10_3_5_3_5_wgs_90_tpt_90_halfLds_dp_op_CI_CI_unitstride_sbrr_C2R_dirReg.kd
    .uniform_work_group_size: 1
    .uses_dynamic_stack: false
    .vgpr_count:     255
    .vgpr_spill_count: 0
    .wavefront_size: 32
    .workgroup_processor_mode: 1
amdhsa.target:   amdgcn-amd-amdhsa--gfx1201
amdhsa.version:
  - 1
  - 2
...

	.end_amdgpu_metadata
